;; amdgpu-corpus repo=ROCm/rocFFT kind=compiled arch=gfx1030 opt=O3
	.text
	.amdgcn_target "amdgcn-amd-amdhsa--gfx1030"
	.amdhsa_code_object_version 6
	.protected	bluestein_single_fwd_len3240_dim1_sp_op_CI_CI ; -- Begin function bluestein_single_fwd_len3240_dim1_sp_op_CI_CI
	.globl	bluestein_single_fwd_len3240_dim1_sp_op_CI_CI
	.p2align	8
	.type	bluestein_single_fwd_len3240_dim1_sp_op_CI_CI,@function
bluestein_single_fwd_len3240_dim1_sp_op_CI_CI: ; @bluestein_single_fwd_len3240_dim1_sp_op_CI_CI
; %bb.0:
	s_load_dwordx4 s[12:15], s[4:5], 0x28
	v_mul_u32_u24_e32 v1, 0x25f, v0
	s_mov_b64 s[22:23], s[2:3]
	s_mov_b64 s[20:21], s[0:1]
	v_mov_b32_e32 v3, 0
	s_add_u32 s20, s20, s7
	v_lshrrev_b32_e32 v1, 16, v1
	s_addc_u32 s21, s21, 0
	s_mov_b32 s0, exec_lo
	v_add_nc_u32_e32 v2, s6, v1
	s_waitcnt lgkmcnt(0)
	v_cmpx_gt_u64_e64 s[12:13], v[2:3]
	s_cbranch_execz .LBB0_2
; %bb.1:
	s_clause 0x1
	s_load_dwordx4 s[0:3], s[4:5], 0x18
	s_load_dwordx4 s[8:11], s[4:5], 0x0
	v_mov_b32_e32 v4, v2
	v_mul_lo_u16 v1, 0x6c, v1
	s_load_dwordx2 s[4:5], s[4:5], 0x38
	v_sub_nc_u16 v67, v0, v1
	v_and_b32_e32 v154, 0xffff, v67
	v_lshlrev_b32_e32 v125, 3, v154
	s_waitcnt lgkmcnt(0)
	s_load_dwordx4 s[16:19], s[0:1], 0x0
	buffer_store_dword v4, off, s[20:23], 0 ; 4-byte Folded Spill
	buffer_store_dword v5, off, s[20:23], 0 offset:4 ; 4-byte Folded Spill
	v_add_co_u32 v32, s0, s8, v125
	v_add_co_ci_u32_e64 v64, null, s9, 0, s0
	global_load_dwordx2 v[74:75], v125, s[8:9]
	v_add_co_u32 v10, vcc_lo, 0x2000, v32
	v_add_co_ci_u32_e32 v11, vcc_lo, 0, v64, vcc_lo
	v_add_nc_u32_e32 v232, 0x2800, v125
	v_add_nc_u32_e32 v23, 0x3000, v125
	;; [unrolled: 1-line block ×4, first 2 shown]
	s_waitcnt lgkmcnt(0)
	v_mad_u64_u32 v[0:1], null, s18, v2, 0
	v_mad_u64_u32 v[2:3], null, s16, v154, 0
	s_mul_i32 s0, s17, 0x21c0
	s_mul_hi_u32 s6, s16, 0x21c0
	s_mul_i32 s1, s16, 0x21c0
	s_add_i32 s0, s6, s0
	s_mul_hi_u32 s6, s16, 0xffffbfe0
	s_mul_i32 s12, s17, 0xffffbfe0
	s_sub_i32 s6, s6, s16
	s_mul_i32 s7, s16, 0xffffbfe0
	s_add_i32 s6, s6, s12
	v_mad_u64_u32 v[4:5], null, s19, v4, v[1:2]
	v_mov_b32_e32 v1, v3
	v_mad_u64_u32 v[5:6], null, s17, v154, v[1:2]
	v_mov_b32_e32 v1, v4
	v_lshlrev_b64 v[0:1], 3, v[0:1]
	v_mov_b32_e32 v3, v5
	v_lshlrev_b64 v[2:3], 3, v[2:3]
	v_add_co_u32 v0, vcc_lo, s14, v0
	v_add_co_ci_u32_e32 v1, vcc_lo, s15, v1, vcc_lo
	v_add_co_u32 v8, vcc_lo, 0x4000, v32
	v_add_co_ci_u32_e32 v9, vcc_lo, 0, v64, vcc_lo
	;; [unrolled: 2-line block ×4, first 2 shown]
	global_load_dwordx2 v[0:1], v[2:3], off
	s_clause 0x1
	global_load_dwordx2 v[56:57], v[10:11], off offset:448
	global_load_dwordx2 v[65:66], v[8:9], off offset:896
	global_load_dwordx2 v[2:3], v[4:5], off
	v_add_co_u32 v4, vcc_lo, v4, s1
	v_add_co_ci_u32_e32 v5, vcc_lo, s0, v5, vcc_lo
	v_add_co_u32 v12, vcc_lo, v4, s7
	v_add_co_ci_u32_e32 v13, vcc_lo, s6, v5, vcc_lo
	;; [unrolled: 2-line block ×12, first 2 shown]
	s_clause 0x1
	global_load_dwordx2 v[6:7], v[4:5], off
	global_load_dwordx2 v[4:5], v[12:13], off
	s_clause 0x18
	global_load_dwordx2 v[78:79], v125, s[8:9] offset:864
	global_load_dwordx2 v[72:73], v125, s[8:9] offset:1728
	global_load_dwordx2 v[119:120], v[10:11], off offset:1312
	global_load_dwordx2 v[117:118], v[8:9], off offset:1760
	;; [unrolled: 1-line block ×23, first 2 shown]
	v_add_co_u32 v10, vcc_lo, v12, s1
	v_add_co_ci_u32_e32 v11, vcc_lo, s0, v13, vcc_lo
	global_load_dwordx2 v[61:62], v[8:9], off offset:32
	v_add_co_u32 v8, vcc_lo, v10, s1
	v_add_co_ci_u32_e32 v9, vcc_lo, s0, v11, vcc_lo
	global_load_dwordx2 v[10:11], v[10:11], off
	v_add_co_u32 v12, vcc_lo, v8, s7
	v_add_co_ci_u32_e32 v13, vcc_lo, s6, v9, vcc_lo
	global_load_dwordx2 v[8:9], v[8:9], off
	;; [unrolled: 3-line block ×19, first 2 shown]
	s_waitcnt vmcnt(51)
	buffer_store_dword v74, off, s[20:23], 0 offset:240 ; 4-byte Folded Spill
	buffer_store_dword v75, off, s[20:23], 0 offset:244 ; 4-byte Folded Spill
	v_add_co_u32 v51, vcc_lo, v49, s7
	v_add_co_ci_u32_e32 v52, vcc_lo, s6, v50, vcc_lo
	global_load_dwordx2 v[49:50], v[49:50], off
	s_waitcnt vmcnt(50)
	buffer_store_dword v56, off, s[20:23], 0 offset:216 ; 4-byte Folded Spill
	buffer_store_dword v57, off, s[20:23], 0 offset:220 ; 4-byte Folded Spill
	v_mul_f32_e32 v20, v0, v75
	v_mul_f32_e32 v53, v1, v75
	v_fma_f32 v54, v1, v74, -v20
	v_fmac_f32_e32 v53, v0, v74
	v_add_nc_u32_e32 v20, 0x4400, v125
	s_waitcnt vmcnt(48)
	v_mul_f32_e32 v55, v3, v57
	v_mul_f32_e32 v1, v2, v57
	v_add_co_u32 v57, vcc_lo, v51, s1
	v_add_co_ci_u32_e32 v58, vcc_lo, s0, v52, vcc_lo
	global_load_dwordx2 v[51:52], v[51:52], off
	buffer_store_dword v65, off, s[20:23], 0 offset:176 ; 4-byte Folded Spill
	buffer_store_dword v66, off, s[20:23], 0 offset:180 ; 4-byte Folded Spill
	v_fmac_f32_e32 v55, v2, v56
	v_add_co_u32 v2, vcc_lo, v57, s1
	v_fma_f32 v56, v3, v56, -v1
	v_add_co_ci_u32_e32 v3, vcc_lo, s0, v58, vcc_lo
	global_load_dwordx2 v[57:58], v[57:58], off
	s_waitcnt vmcnt(47)
	buffer_store_dword v78, off, s[20:23], 0 offset:232 ; 4-byte Folded Spill
	buffer_store_dword v79, off, s[20:23], 0 offset:236 ; 4-byte Folded Spill
	ds_write_b64 v125, v[55:56] offset:8640
	v_add_co_u32 v55, vcc_lo, v2, s7
	v_add_co_ci_u32_e32 v56, vcc_lo, s6, v3, vcc_lo
	global_load_dwordx2 v[2:3], v[2:3], off
	v_mul_f32_e32 v0, v7, v66
	v_mul_f32_e32 v1, v6, v66
	v_fmac_f32_e32 v0, v6, v65
	v_fma_f32 v1, v7, v65, -v1
	v_mul_f32_e32 v6, v5, v79
	v_mul_f32_e32 v7, v4, v79
	ds_write_b64 v125, v[0:1] offset:17280
	v_fmac_f32_e32 v6, v4, v78
	v_add_co_u32 v4, vcc_lo, v55, s1
	v_fma_f32 v7, v5, v78, -v7
	v_add_co_ci_u32_e32 v5, vcc_lo, s0, v56, vcc_lo
	v_add_co_u32 v0, vcc_lo, v4, s1
	ds_write2_b64 v125, v[53:54], v[6:7] offset1:108
	v_add_co_ci_u32_e32 v1, vcc_lo, s0, v5, vcc_lo
	global_load_dwordx2 v[55:56], v[55:56], off
	global_load_dwordx2 v[4:5], v[4:5], off
	global_load_dwordx2 v[53:54], v[233:234], off offset:480
	global_load_dwordx2 v[0:1], v[0:1], off
	s_waitcnt vmcnt(50)
	buffer_store_dword v119, off, s[20:23], 0 offset:224 ; 4-byte Folded Spill
	buffer_store_dword v120, off, s[20:23], 0 offset:228 ; 4-byte Folded Spill
	s_waitcnt vmcnt(46)
	buffer_store_dword v113, off, s[20:23], 0 offset:168 ; 4-byte Folded Spill
	buffer_store_dword v114, off, s[20:23], 0 offset:172 ; 4-byte Folded Spill
	;; [unrolled: 1-line block ×4, first 2 shown]
	v_cmp_gt_u16_e32 vcc_lo, 0x5a, v67
	s_waitcnt vmcnt(26)
	v_mul_f32_e32 v7, v10, v120
	v_mul_f32_e32 v6, v11, v120
	v_fma_f32 v7, v11, v119, -v7
	s_waitcnt vmcnt(23)
	v_mul_f32_e32 v11, v14, v114
	v_fmac_f32_e32 v6, v10, v119
	v_mul_f32_e32 v10, v15, v114
	v_fma_f32 v11, v15, v113, -v11
	v_add_nc_u32_e32 v15, 0x2400, v125
	v_fmac_f32_e32 v10, v14, v113
	v_mul_f32_e32 v14, v8, v118
	ds_write2_b64 v15, v[6:7], v[10:11] offset0:36 offset1:144
	buffer_store_dword v72, off, s[20:23], 0 offset:184 ; 4-byte Folded Spill
	buffer_store_dword v73, off, s[20:23], 0 offset:188 ; 4-byte Folded Spill
	;; [unrolled: 1-line block ×6, first 2 shown]
	v_mul_f32_e32 v6, v9, v118
	v_fma_f32 v7, v9, v117, -v14
	v_fmac_f32_e32 v6, v8, v117
	v_mul_f32_e32 v10, v12, v73
	v_mul_f32_e32 v9, v13, v73
	s_waitcnt vmcnt(22)
	v_mul_f32_e32 v8, v16, v108
	v_mul_f32_e32 v11, v17, v108
	v_fma_f32 v10, v13, v72, -v10
	v_fmac_f32_e32 v9, v12, v72
	v_fma_f32 v12, v17, v107, -v8
	s_waitcnt vmcnt(21)
	v_mul_f32_e32 v8, v18, v116
	v_mul_f32_e32 v13, v19, v116
	v_fmac_f32_e32 v11, v16, v107
	v_add_nc_u32_e32 v17, 0x400, v125
	v_add_nc_u32_e32 v16, 0xc00, v125
	v_fma_f32 v14, v19, v115, -v8
	v_fmac_f32_e32 v13, v18, v115
	ds_write2_b64 v20, v[6:7], v[11:12] offset0:92 offset1:200
	buffer_store_dword v111, off, s[20:23], 0 offset:200 ; 4-byte Folded Spill
	buffer_store_dword v112, off, s[20:23], 0 offset:204 ; 4-byte Folded Spill
	v_add_nc_u32_e32 v19, 0x4c00, v125
	v_mov_b32_e32 v80, v17
	ds_write2_b64 v17, v[9:10], v[13:14] offset0:88 offset1:196
	buffer_store_dword v105, off, s[20:23], 0 offset:152 ; 4-byte Folded Spill
	buffer_store_dword v106, off, s[20:23], 0 offset:156 ; 4-byte Folded Spill
	;; [unrolled: 1-line block ×6, first 2 shown]
	s_load_dwordx4 s[0:3], s[2:3], 0x0
	buffer_store_dword v99, off, s[20:23], 0 offset:104 ; 4-byte Folded Spill
	buffer_store_dword v100, off, s[20:23], 0 offset:108 ; 4-byte Folded Spill
	v_add_nc_u32_e32 v18, 0x5000, v125
	v_add_nc_u32_e32 v20, 0x1800, v125
	s_waitcnt vmcnt(20)
	v_mul_f32_e32 v7, v21, v112
	v_mul_f32_e32 v6, v22, v112
	s_waitcnt vmcnt(19)
	v_mul_f32_e32 v9, v24, v106
	s_waitcnt vmcnt(17)
	v_mul_f32_e32 v10, v29, v102
	v_mul_f32_e32 v11, v28, v102
	v_fma_f32 v7, v22, v111, -v7
	v_fmac_f32_e32 v6, v21, v111
	v_mul_f32_e32 v8, v25, v106
	v_fmac_f32_e32 v10, v28, v101
	v_fma_f32 v11, v29, v101, -v11
	v_mul_f32_e32 v13, v26, v110
	v_mul_f32_e32 v12, v27, v110
	s_waitcnt vmcnt(16)
	v_mul_f32_e32 v14, v30, v100
	v_fma_f32 v9, v25, v105, -v9
	ds_write2_b64 v232, v[6:7], v[10:11] offset0:124 offset1:232
	buffer_store_dword v103, off, s[20:23], 0 offset:144 ; 4-byte Folded Spill
	buffer_store_dword v104, off, s[20:23], 0 offset:148 ; 4-byte Folded Spill
	v_mul_f32_e32 v6, v31, v100
	v_fmac_f32_e32 v8, v24, v105
	v_fma_f32 v13, v27, v109, -v13
	v_fmac_f32_e32 v12, v26, v109
	v_fma_f32 v7, v31, v99, -v14
	v_fmac_f32_e32 v6, v30, v99
	buffer_store_dword v97, off, s[20:23], 0 offset:112 ; 4-byte Folded Spill
	buffer_store_dword v98, off, s[20:23], 0 offset:116 ; 4-byte Folded Spill
	v_mov_b32_e32 v29, v16
	v_mov_b32_e32 v31, v18
	v_add_nc_u32_e32 v25, 0x4000, v125
	ds_write2_b64 v19, v[8:9], v[6:7] offset0:52 offset1:160
	buffer_store_dword v95, off, s[20:23], 0 offset:128 ; 4-byte Folded Spill
	buffer_store_dword v96, off, s[20:23], 0 offset:132 ; 4-byte Folded Spill
	v_add_nc_u32_e32 v22, 0x5800, v125
	v_add_nc_u32_e32 v21, 0x2000, v125
	v_mov_b32_e32 v30, v20
	v_add_nc_u32_e32 v28, 0x2c00, v125
	v_mov_b32_e32 v155, v21
	v_mov_b32_e32 v166, v30
	s_waitcnt vmcnt(15)
	v_mul_f32_e32 v10, v34, v104
	v_mul_f32_e32 v11, v33, v104
	v_fmac_f32_e32 v10, v33, v103
	v_fma_f32 v11, v34, v103, -v11
	s_waitcnt vmcnt(14)
	v_mul_f32_e32 v14, v36, v98
	v_mul_f32_e32 v15, v35, v98
	ds_write2_b64 v16, v[12:13], v[10:11] offset0:48 offset1:156
	buffer_store_dword v93, off, s[20:23], 0 offset:96 ; 4-byte Folded Spill
	buffer_store_dword v94, off, s[20:23], 0 offset:100 ; 4-byte Folded Spill
	;; [unrolled: 1-line block ×8, first 2 shown]
	s_waitcnt vmcnt(13)
	v_mul_f32_e32 v6, v38, v96
	v_mul_f32_e32 v7, v37, v96
	v_fmac_f32_e32 v14, v35, v97
	v_fma_f32 v15, v36, v97, -v15
	v_mov_b32_e32 v96, v29
	v_fmac_f32_e32 v6, v37, v95
	v_fma_f32 v7, v38, v95, -v7
	v_mov_b32_e32 v95, v28
	v_mov_b32_e32 v170, v95
	s_waitcnt vmcnt(12)
	v_mul_f32_e32 v9, v39, v94
	v_mul_f32_e32 v8, v40, v94
	s_waitcnt vmcnt(11)
	v_mul_f32_e32 v11, v41, v92
	v_mul_f32_e32 v10, v42, v92
	;; [unrolled: 3-line block ×4, first 2 shown]
	v_fma_f32 v9, v40, v93, -v9
	v_fmac_f32_e32 v8, v39, v93
	v_fma_f32 v11, v42, v91, -v11
	v_fmac_f32_e32 v10, v41, v91
	v_fmac_f32_e32 v12, v43, v89
	v_fma_f32 v13, v44, v89, -v13
	v_fma_f32 v17, v46, v87, -v17
	v_fmac_f32_e32 v16, v45, v87
	ds_write2_b64 v23, v[14:15], v[10:11] offset0:84 offset1:192
	buffer_store_dword v81, off, s[20:23], 0 offset:64 ; 4-byte Folded Spill
	buffer_store_dword v82, off, s[20:23], 0 offset:68 ; 4-byte Folded Spill
	ds_write2_b64 v18, v[6:7], v[12:13] offset0:140 offset1:248
	buffer_store_dword v83, off, s[20:23], 0 offset:56 ; 4-byte Folded Spill
	buffer_store_dword v84, off, s[20:23], 0 offset:60 ; 4-byte Folded Spill
	;; [unrolled: 3-line block ×3, first 2 shown]
	buffer_store_dword v68, off, s[20:23], 0 offset:40 ; 4-byte Folded Spill
	buffer_store_dword v69, off, s[20:23], 0 offset:44 ; 4-byte Folded Spill
	;; [unrolled: 1-line block ×8, first 2 shown]
	s_waitcnt vmcnt(1)
	buffer_store_dword v53, off, s[20:23], 0 offset:8 ; 4-byte Folded Spill
	buffer_store_dword v54, off, s[20:23], 0 offset:12 ; 4-byte Folded Spill
	v_mov_b32_e32 v91, v25
	v_mov_b32_e32 v94, v31
	;; [unrolled: 1-line block ×4, first 2 shown]
	v_mul_f32_e32 v10, v47, v82
	v_mul_f32_e32 v6, v48, v82
	;; [unrolled: 1-line block ×10, first 2 shown]
	v_fma_f32 v15, v3, v70, -v15
	v_fma_f32 v3, v56, v59, -v16
	v_mul_f32_e32 v16, v5, v62
	s_waitcnt vmcnt(0)
	v_mul_f32_e32 v19, v0, v54
	v_mul_f32_e32 v18, v1, v54
	v_fma_f32 v7, v48, v81, -v10
	v_fma_f32 v9, v50, v83, -v11
	v_mul_f32_e32 v11, v51, v77
	v_mul_f32_e32 v10, v52, v77
	v_fmac_f32_e32 v14, v2, v70
	v_mul_f32_e32 v2, v56, v60
	v_fmac_f32_e32 v6, v47, v81
	v_fma_f32 v13, v58, v68, -v13
	v_fmac_f32_e32 v12, v57, v68
	v_fma_f32 v17, v5, v61, -v17
	v_fmac_f32_e32 v16, v4, v61
	v_fmac_f32_e32 v8, v49, v83
	v_fma_f32 v19, v1, v53, -v19
	v_fmac_f32_e32 v18, v0, v53
	v_fma_f32 v11, v52, v76, -v11
	v_fmac_f32_e32 v10, v51, v76
	v_fmac_f32_e32 v2, v55, v59
	ds_write2_b64 v63, v[6:7], v[12:13] offset0:44 offset1:152
	ds_write2_b64 v22, v[8:9], v[14:15] offset0:100 offset1:208
	;; [unrolled: 1-line block ×3, first 2 shown]
	ds_write_b64 v125, v[16:17] offset:16416
	ds_write_b64 v125, v[18:19] offset:25056
	s_waitcnt lgkmcnt(0)
	s_waitcnt_vscnt null, 0x0
	s_barrier
	buffer_gl0_inv
	ds_read2_b64 v[0:3], v125 offset1:108
	ds_read2_b64 v[4:7], v21 offset0:56 offset1:164
	ds_read2_b64 v[8:11], v25 offset0:112 offset1:220
	v_add_nc_u32_e32 v20, 0x4800, v125
	ds_read2_b64 v[12:15], v80 offset0:88 offset1:196
	ds_read2_b64 v[16:19], v232 offset0:16 offset1:124
	;; [unrolled: 1-line block ×3, first 2 shown]
	v_add_nc_u32_e32 v59, 0x5c00, v125
	v_mov_b32_e32 v164, v20
	v_mov_b32_e32 v92, v59
	;; [unrolled: 1-line block ×3, first 2 shown]
	s_waitcnt lgkmcnt(4)
	v_add_f32_e32 v20, v0, v4
	s_waitcnt lgkmcnt(3)
	v_add_f32_e32 v23, v4, v8
	v_sub_f32_e32 v47, v5, v9
	v_add_f32_e32 v22, v1, v5
	v_add_f32_e32 v48, v5, v9
	v_sub_f32_e32 v49, v4, v8
	v_add_f32_e32 v4, v2, v6
	v_add_f32_e32 v5, v3, v7
	;; [unrolled: 1-line block ×3, first 2 shown]
	v_sub_f32_e32 v51, v7, v11
	v_add_f32_e32 v52, v7, v11
	v_sub_f32_e32 v53, v6, v10
	s_waitcnt lgkmcnt(1)
	v_add_f32_e32 v6, v12, v16
	v_add_f32_e32 v7, v13, v17
	;; [unrolled: 1-line block ×8, first 2 shown]
	s_waitcnt lgkmcnt(0)
	v_add_f32_e32 v35, v6, v24
	v_add_f32_e32 v36, v7, v25
	;; [unrolled: 1-line block ×4, first 2 shown]
	ds_read2_b64 v[4:7], v29 offset0:48 offset1:156
	ds_read2_b64 v[8:11], v28 offset0:104 offset1:212
	v_add_f32_e32 v54, v16, v24
	v_sub_f32_e32 v55, v17, v25
	v_add_f32_e32 v56, v17, v25
	v_sub_f32_e32 v57, v16, v24
	;; [unrolled: 2-line block ×4, first 2 shown]
	ds_read2_b64 v[16:19], v31 offset0:32 offset1:140
	v_add_nc_u32_e32 v29, 0x5400, v125
	v_fma_f32 v0, -0.5, v23, v0
	v_fma_f32 v1, -0.5, v48, v1
	v_mul_lo_u16 v23, v67, 3
	v_fma_f32 v2, -0.5, v50, v2
	v_mov_b32_e32 v165, v29
	v_fmac_f32_e32 v3, -0.5, v52
	v_fma_f32 v14, -0.5, v20, v14
	v_fmac_f32_e32 v15, -0.5, v61
	s_waitcnt lgkmcnt(1)
	v_add_f32_e32 v24, v4, v8
	v_add_f32_e32 v25, v5, v9
	s_waitcnt lgkmcnt(0)
	v_add_f32_e32 v63, v8, v16
	v_sub_f32_e32 v65, v9, v17
	v_add_f32_e32 v66, v9, v17
	v_sub_f32_e32 v68, v8, v16
	v_add_f32_e32 v8, v6, v10
	v_add_f32_e32 v9, v7, v11
	;; [unrolled: 1-line block ×3, first 2 shown]
	v_add_nc_u32_e32 v24, 0x3400, v125
	v_add_f32_e32 v69, v10, v18
	v_sub_f32_e32 v70, v11, v19
	v_add_f32_e32 v71, v11, v19
	v_sub_f32_e32 v72, v10, v18
	v_add_f32_e32 v40, v25, v17
	v_add_f32_e32 v41, v8, v18
	;; [unrolled: 1-line block ×3, first 2 shown]
	ds_read2_b64 v[8:11], v231 offset0:136 offset1:244
	ds_read2_b64 v[16:19], v24 offset0:64 offset1:172
	v_mov_b32_e32 v167, v24
	ds_read2_b64 v[24:27], v29 offset0:120 offset1:228
	v_fma_f32 v6, -0.5, v69, v6
	v_fmac_f32_e32 v7, -0.5, v71
	s_waitcnt lgkmcnt(1)
	v_add_f32_e32 v28, v8, v16
	v_add_f32_e32 v29, v9, v17
	s_waitcnt lgkmcnt(0)
	v_add_f32_e32 v73, v16, v24
	v_sub_f32_e32 v74, v17, v25
	v_add_f32_e32 v75, v17, v25
	v_sub_f32_e32 v76, v16, v24
	v_add_f32_e32 v16, v10, v18
	v_add_f32_e32 v17, v11, v19
	v_add_f32_e32 v43, v28, v24
	v_add_nc_u32_e32 v28, 0x3c00, v125
	v_add_f32_e32 v77, v18, v26
	v_sub_f32_e32 v78, v19, v27
	v_add_f32_e32 v79, v19, v27
	v_sub_f32_e32 v82, v18, v26
	v_add_f32_e32 v44, v29, v25
	v_add_f32_e32 v45, v16, v26
	;; [unrolled: 1-line block ×3, first 2 shown]
	ds_read2_b64 v[16:19], v30 offset0:96 offset1:204
	ds_read2_b64 v[24:27], v28 offset0:24 offset1:132
	v_mov_b32_e32 v93, v28
	ds_read2_b64 v[28:31], v59 offset0:80 offset1:188
	v_fma_f32 v10, -0.5, v77, v10
	v_fmac_f32_e32 v11, -0.5, v79
	s_waitcnt lgkmcnt(1)
	v_add_f32_e32 v81, v18, v26
	v_add_f32_e32 v58, v16, v24
	;; [unrolled: 1-line block ×3, first 2 shown]
	s_waitcnt lgkmcnt(0)
	v_add_f32_e32 v87, v26, v30
	v_sub_f32_e32 v90, v26, v30
	v_add_f32_e32 v26, v81, v30
	v_mov_b32_e32 v81, 3
	v_add_f32_e32 v83, v24, v28
	v_sub_f32_e32 v84, v25, v29
	v_add_f32_e32 v85, v25, v29
	v_sub_f32_e32 v86, v24, v28
	v_add_f32_e32 v24, v58, v28
	v_add_f32_e32 v25, v59, v29
	v_lshlrev_b32_sdwa v23, v81, v23 dst_sel:DWORD dst_unused:UNUSED_PAD src0_sel:DWORD src1_sel:WORD_0
	v_fmamk_f32 v28, v47, 0x3f5db3d7, v0
	v_fmamk_f32 v29, v49, 0xbf5db3d7, v1
	v_fmac_f32_e32 v0, 0xbf5db3d7, v47
	v_fmac_f32_e32 v1, 0x3f5db3d7, v49
	v_add_co_u32 v59, null, 0x6c, v154
	buffer_store_dword v23, off, s[20:23], 0 offset:252 ; 4-byte Folded Spill
	s_waitcnt_vscnt null, 0x0
	s_barrier
	buffer_gl0_inv
	ds_write_b64 v23, v[0:1] offset:16
	v_mul_u32_u24_e32 v0, 3, v59
	ds_write2_b64 v23, v[21:22], v[28:29] offset1:1
	v_fmamk_f32 v1, v53, 0xbf5db3d7, v3
	v_fmac_f32_e32 v3, 0x3f5db3d7, v53
	v_add_co_u32 v58, null, 0xd8, v154
	v_lshlrev_b32_e32 v21, 3, v0
	v_fmamk_f32 v0, v51, 0x3f5db3d7, v2
	v_fmac_f32_e32 v2, 0xbf5db3d7, v51
	v_and_b32_e32 v20, 0xff, v59
	v_add_f32_e32 v89, v27, v31
	v_sub_f32_e32 v88, v27, v31
	ds_write2_b64 v21, v[33:34], v[0:1] offset1:1
	ds_write_b64 v21, v[2:3] offset:16
	v_fma_f32 v0, -0.5, v54, v12
	v_fma_f32 v1, -0.5, v56, v13
	v_mul_u32_u24_e32 v2, 3, v58
	v_add_co_u32 v56, null, 0x1b0, v154
	v_add_f32_e32 v27, v19, v27
	v_fmamk_f32 v3, v57, 0xbf5db3d7, v1
	v_lshlrev_b32_e32 v12, 3, v2
	v_fmamk_f32 v2, v55, 0x3f5db3d7, v0
	v_fmac_f32_e32 v0, 0xbf5db3d7, v55
	v_fmac_f32_e32 v1, 0x3f5db3d7, v57
	v_add_co_u32 v57, null, 0x144, v154
	ds_write2_b64 v12, v[35:36], v[2:3] offset1:1
	v_fma_f32 v18, -0.5, v87, v18
	ds_write_b64 v12, v[0:1] offset:16
	v_mul_u32_u24_e32 v0, 3, v57
	v_fmamk_f32 v1, v62, 0xbf5db3d7, v15
	v_fmac_f32_e32 v15, 0x3f5db3d7, v62
	v_fmac_f32_e32 v19, -0.5, v89
	v_add_f32_e32 v27, v27, v31
	v_lshlrev_b32_e32 v2, 3, v0
	v_fmamk_f32 v0, v60, 0x3f5db3d7, v14
	v_fmac_f32_e32 v14, 0xbf5db3d7, v60
	buffer_store_dword v21, off, s[20:23], 0 offset:256 ; 4-byte Folded Spill
	buffer_store_dword v12, off, s[20:23], 0 offset:260 ; 4-byte Folded Spill
	;; [unrolled: 1-line block ×3, first 2 shown]
	ds_write2_b64 v2, v[37:38], v[0:1] offset1:1
	ds_write_b64 v2, v[14:15] offset:16
	v_fma_f32 v0, -0.5, v63, v4
	v_fma_f32 v1, -0.5, v66, v5
	v_mul_u32_u24_e32 v2, 3, v56
	v_add_co_u32 v5, null, 0x288, v154
	v_fmamk_f32 v3, v68, 0xbf5db3d7, v1
	v_lshlrev_b32_e32 v4, 3, v2
	v_fmamk_f32 v2, v65, 0x3f5db3d7, v0
	v_fmac_f32_e32 v0, 0xbf5db3d7, v65
	v_fmac_f32_e32 v1, 0x3f5db3d7, v68
	buffer_store_dword v4, off, s[20:23], 0 offset:272 ; 4-byte Folded Spill
	ds_write2_b64 v4, v[39:40], v[2:3] offset1:1
	ds_write_b64 v4, v[0:1] offset:16
	v_add_co_u32 v4, null, 0x21c, v154
	v_fmamk_f32 v1, v72, 0xbf5db3d7, v7
	v_fmac_f32_e32 v7, 0x3f5db3d7, v72
	v_mul_u32_u24_e32 v0, 3, v4
	v_lshlrev_b32_e32 v2, 3, v0
	v_fmamk_f32 v0, v70, 0x3f5db3d7, v6
	v_fmac_f32_e32 v6, 0xbf5db3d7, v70
	buffer_store_dword v2, off, s[20:23], 0 offset:268 ; 4-byte Folded Spill
	ds_write2_b64 v2, v[41:42], v[0:1] offset1:1
	ds_write_b64 v2, v[6:7] offset:16
	v_fma_f32 v0, -0.5, v73, v8
	v_fma_f32 v1, -0.5, v75, v9
	v_mul_u32_u24_e32 v6, 3, v5
	v_add_co_u32 v7, null, 0x360, v154
	v_fmamk_f32 v2, v74, 0x3f5db3d7, v0
	v_fmamk_f32 v3, v76, 0xbf5db3d7, v1
	v_lshlrev_b32_e32 v6, 3, v6
	v_fmac_f32_e32 v0, 0xbf5db3d7, v74
	v_fmac_f32_e32 v1, 0x3f5db3d7, v76
	v_mul_u32_u24_e32 v8, 3, v7
	ds_write2_b64 v6, v[43:44], v[2:3] offset1:1
	buffer_store_dword v6, off, s[20:23], 0 offset:276 ; 4-byte Folded Spill
	ds_write_b64 v6, v[0:1] offset:16
	v_add_co_u32 v6, null, 0x2f4, v154
	v_fmamk_f32 v0, v78, 0x3f5db3d7, v10
	v_fmamk_f32 v1, v82, 0xbf5db3d7, v11
	v_fmac_f32_e32 v10, 0xbf5db3d7, v78
	v_mul_u32_u24_e32 v2, 3, v6
	v_fmac_f32_e32 v11, 0x3f5db3d7, v82
	v_lshlrev_b32_e32 v8, 3, v8
	v_lshlrev_b32_e32 v2, 3, v2
	buffer_store_dword v8, off, s[20:23], 0 offset:284 ; 4-byte Folded Spill
	ds_write2_b64 v2, v[45:46], v[0:1] offset1:1
	v_fma_f32 v0, -0.5, v83, v16
	v_fma_f32 v1, -0.5, v85, v17
	buffer_store_dword v2, off, s[20:23], 0 offset:280 ; 4-byte Folded Spill
	ds_write_b64 v2, v[10:11] offset:16
	v_and_b32_e32 v16, 0xff, v67
	v_fmamk_f32 v2, v84, 0x3f5db3d7, v0
	v_fmamk_f32 v3, v86, 0xbf5db3d7, v1
	v_fmac_f32_e32 v0, 0xbf5db3d7, v84
	v_fmac_f32_e32 v1, 0x3f5db3d7, v86
	ds_write2_b64 v8, v[24:25], v[2:3] offset1:1
	v_mul_lo_u16 v2, 0xab, v16
	ds_write_b64 v8, v[0:1] offset:16
	v_add_co_u32 v8, null, 0x3cc, v154
	v_mul_lo_u16 v3, 0xab, v20
	v_lshrrev_b16 v11, 9, v2
	v_fmamk_f32 v0, v88, 0x3f5db3d7, v18
	v_mul_u32_u24_e32 v9, 3, v8
	v_fmamk_f32 v1, v90, 0xbf5db3d7, v19
	v_lshrrev_b16 v10, 9, v3
	v_mul_lo_u16 v2, v11, 3
	v_fmac_f32_e32 v18, 0xbf5db3d7, v88
	v_lshlrev_b32_e32 v3, 3, v9
	v_fmac_f32_e32 v19, 0x3f5db3d7, v90
	v_sub_nc_u16 v2, v67, v2
	buffer_store_dword v3, off, s[20:23], 0 offset:288 ; 4-byte Folded Spill
	ds_write2_b64 v3, v[26:27], v[0:1] offset1:1
	ds_write_b64 v3, v[18:19] offset:16
	s_waitcnt lgkmcnt(0)
	s_waitcnt_vscnt null, 0x0
	v_and_b32_e32 v21, 0xff, v2
	v_mul_lo_u16 v2, v10, 3
	s_barrier
	buffer_gl0_inv
	v_lshlrev_b32_e32 v0, 4, v21
	v_sub_nc_u16 v1, v59, v2
	global_load_dwordx4 v[12:15], v0, s[10:11]
	v_and_b32_e32 v23, 0xff, v1
	v_lshlrev_b32_e32 v0, 4, v23
	global_load_dwordx4 v[26:29], v0, s[10:11]
	s_waitcnt vmcnt(0)
	buffer_store_dword v26, off, s[20:23], 0 offset:292 ; 4-byte Folded Spill
	buffer_store_dword v27, off, s[20:23], 0 offset:296 ; 4-byte Folded Spill
	;; [unrolled: 1-line block ×4, first 2 shown]
	ds_read2_b64 v[0:3], v155 offset0:56 offset1:164
	s_waitcnt lgkmcnt(0)
	v_mul_f32_e32 v9, v1, v13
	v_mul_f32_e32 v25, v0, v13
	v_fma_f32 v24, v0, v12, -v9
	v_fmac_f32_e32 v25, v1, v12
	v_mul_f32_e32 v0, v3, v27
	v_mul_f32_e32 v34, v2, v27
	v_fma_f32 v33, v2, v26, -v0
	v_fmac_f32_e32 v34, v3, v26
	ds_read2_b64 v[0:3], v91 offset0:112 offset1:220
	s_waitcnt lgkmcnt(0)
	v_mul_f32_e32 v9, v1, v15
	v_mul_f32_e32 v36, v2, v29
	v_fma_f32 v26, v0, v14, -v9
	buffer_store_dword v12, off, s[20:23], 0 offset:308 ; 4-byte Folded Spill
	buffer_store_dword v13, off, s[20:23], 0 offset:312 ; 4-byte Folded Spill
	;; [unrolled: 1-line block ×4, first 2 shown]
	v_mov_b32_e32 v9, 0xaaab
	v_fmac_f32_e32 v36, v3, v28
	v_mul_f32_e32 v27, v0, v15
	v_mul_f32_e32 v0, v3, v29
	v_fmac_f32_e32 v27, v1, v14
	v_fma_f32 v35, v2, v28, -v0
	v_mul_u32_u24_sdwa v0, v58, v9 dst_sel:DWORD dst_unused:UNUSED_PAD src0_sel:WORD_0 src1_sel:DWORD
	v_sub_f32_e32 v91, v25, v27
	v_lshrrev_b32_e32 v37, 17, v0
	v_mul_u32_u24_sdwa v0, v57, v9 dst_sel:DWORD dst_unused:UNUSED_PAD src0_sel:WORD_0 src1_sel:DWORD
	v_lshrrev_b32_e32 v38, 17, v0
	v_mul_lo_u16 v0, v37, 3
	v_sub_nc_u16 v39, v58, v0
	v_mul_lo_u16 v0, v38, 3
	v_sub_nc_u16 v40, v57, v0
	v_lshlrev_b16 v0, 1, v39
	v_lshlrev_b16 v1, 1, v40
	v_lshlrev_b32_sdwa v0, v81, v0 dst_sel:DWORD dst_unused:UNUSED_PAD src0_sel:DWORD src1_sel:WORD_0
	v_lshlrev_b32_sdwa v1, v81, v1 dst_sel:DWORD dst_unused:UNUSED_PAD src0_sel:DWORD src1_sel:WORD_0
	global_load_dwordx4 v[43:46], v0, s[10:11]
	s_waitcnt vmcnt(0)
	buffer_store_dword v43, off, s[20:23], 0 offset:380 ; 4-byte Folded Spill
	buffer_store_dword v44, off, s[20:23], 0 offset:384 ; 4-byte Folded Spill
	;; [unrolled: 1-line block ×4, first 2 shown]
	global_load_dwordx4 v[28:31], v1, s[10:11]
	s_waitcnt vmcnt(0)
	buffer_store_dword v28, off, s[20:23], 0 offset:324 ; 4-byte Folded Spill
	buffer_store_dword v29, off, s[20:23], 0 offset:328 ; 4-byte Folded Spill
	;; [unrolled: 1-line block ×4, first 2 shown]
	ds_read2_b64 v[0:3], v232 offset0:16 offset1:124
	s_waitcnt lgkmcnt(0)
	v_mul_f32_e32 v12, v1, v44
	v_mul_f32_e32 v42, v0, v44
	v_fma_f32 v41, v0, v43, -v12
	v_fmac_f32_e32 v42, v1, v43
	v_mul_f32_e32 v0, v3, v29
	v_mul_f32_e32 v65, v2, v29
	v_fma_f32 v43, v2, v28, -v0
	v_fmac_f32_e32 v65, v3, v28
	ds_read2_b64 v[0:3], v164 offset0:72 offset1:180
	s_waitcnt lgkmcnt(0)
	v_mul_f32_e32 v12, v1, v46
	v_mul_f32_e32 v68, v0, v46
	;; [unrolled: 1-line block ×3, first 2 shown]
	v_fma_f32 v66, v0, v45, -v12
	v_mul_f32_e32 v0, v3, v31
	v_fmac_f32_e32 v68, v1, v45
	v_fmac_f32_e32 v70, v3, v30
	v_fma_f32 v69, v2, v30, -v0
	v_mul_u32_u24_sdwa v0, v4, v9 dst_sel:DWORD dst_unused:UNUSED_PAD src0_sel:WORD_0 src1_sel:DWORD
	v_lshrrev_b32_e32 v71, 17, v0
	v_mul_lo_u16 v0, v71, 3
	v_sub_nc_u16 v72, v4, v0
	v_mul_u32_u24_sdwa v0, v56, v9 dst_sel:DWORD dst_unused:UNUSED_PAD src0_sel:WORD_0 src1_sel:DWORD
	v_lshlrev_b16 v1, 1, v72
	v_lshrrev_b32_e32 v73, 17, v0
	v_lshlrev_b32_sdwa v1, v81, v1 dst_sel:DWORD dst_unused:UNUSED_PAD src0_sel:DWORD src1_sel:WORD_0
	v_mul_lo_u16 v0, v73, 3
	v_sub_nc_u16 v74, v56, v0
	v_lshlrev_b16 v0, 1, v74
	v_lshlrev_b32_sdwa v0, v81, v0 dst_sel:DWORD dst_unused:UNUSED_PAD src0_sel:DWORD src1_sel:WORD_0
	s_clause 0x1
	global_load_dwordx4 v[235:238], v0, s[10:11]
	global_load_dwordx4 v[12:15], v1, s[10:11]
	s_waitcnt vmcnt(0)
	buffer_store_dword v12, off, s[20:23], 0 offset:540 ; 4-byte Folded Spill
	buffer_store_dword v13, off, s[20:23], 0 offset:544 ; 4-byte Folded Spill
	;; [unrolled: 1-line block ×4, first 2 shown]
	ds_read2_b64 v[0:3], v95 offset0:104 offset1:212
	v_mov_b32_e32 v95, v93
	s_waitcnt lgkmcnt(0)
	v_mul_f32_e32 v4, v1, v236
	v_mul_f32_e32 v76, v0, v236
	v_fma_f32 v75, v0, v235, -v4
	v_fmac_f32_e32 v76, v1, v235
	v_mul_f32_e32 v0, v3, v13
	v_mul_f32_e32 v78, v2, v13
	v_fma_f32 v77, v2, v12, -v0
	v_fmac_f32_e32 v78, v3, v12
	ds_read2_b64 v[0:3], v94 offset0:32 offset1:140
	s_waitcnt lgkmcnt(0)
	v_mul_f32_e32 v4, v1, v238
	v_mul_f32_e32 v82, v0, v238
	v_mul_f32_e32 v84, v2, v15
	v_fma_f32 v79, v0, v237, -v4
	v_mul_f32_e32 v0, v3, v15
	v_fmac_f32_e32 v82, v1, v237
	v_fmac_f32_e32 v84, v3, v14
	v_fma_f32 v83, v2, v14, -v0
	v_mul_u32_u24_sdwa v0, v5, v9 dst_sel:DWORD dst_unused:UNUSED_PAD src0_sel:WORD_0 src1_sel:DWORD
	v_lshrrev_b32_e32 v85, 17, v0
	v_mul_lo_u16 v0, v85, 3
	v_sub_nc_u16 v86, v5, v0
	v_mul_u32_u24_sdwa v0, v6, v9 dst_sel:DWORD dst_unused:UNUSED_PAD src0_sel:WORD_0 src1_sel:DWORD
	v_lshlrev_b16 v2, 1, v86
	v_lshrrev_b32_e32 v0, 17, v0
	v_lshlrev_b32_sdwa v2, v81, v2 dst_sel:DWORD dst_unused:UNUSED_PAD src0_sel:DWORD src1_sel:WORD_0
	v_mul_lo_u16 v1, v0, 3
	v_sub_nc_u16 v1, v6, v1
	v_lshlrev_b16 v3, 1, v1
	v_lshlrev_b32_sdwa v3, v81, v3 dst_sel:DWORD dst_unused:UNUSED_PAD src0_sel:DWORD src1_sel:WORD_0
	s_clause 0x1
	global_load_dwordx4 v[221:224], v2, s[10:11]
	global_load_dwordx4 v[225:228], v3, s[10:11]
	ds_read2_b64 v[2:5], v167 offset0:64 offset1:172
	s_waitcnt vmcnt(1) lgkmcnt(0)
	v_mul_f32_e32 v6, v3, v222
	v_mul_f32_e32 v88, v2, v222
	s_waitcnt vmcnt(0)
	v_mul_f32_e32 v22, v4, v226
	v_fma_f32 v87, v2, v221, -v6
	v_mul_f32_e32 v2, v5, v226
	v_fmac_f32_e32 v88, v3, v221
	v_fmac_f32_e32 v22, v5, v225
	v_fma_f32 v19, v4, v225, -v2
	ds_read2_b64 v[2:5], v165 offset0:120 offset1:228
	s_waitcnt lgkmcnt(0)
	v_mul_f32_e32 v6, v3, v224
	v_mul_f32_e32 v90, v2, v224
	v_fma_f32 v89, v2, v223, -v6
	v_mul_f32_e32 v2, v5, v228
	v_fmac_f32_e32 v90, v3, v223
	v_fma_f32 v44, v4, v227, -v2
	v_mul_u32_u24_sdwa v2, v7, v9 dst_sel:DWORD dst_unused:UNUSED_PAD src0_sel:WORD_0 src1_sel:DWORD
	v_mul_f32_e32 v4, v4, v228
	v_lshrrev_b32_e32 v17, 17, v2
	v_fmac_f32_e32 v4, v5, v227
	v_mul_lo_u16 v2, v17, 3
	v_sub_nc_u16 v18, v7, v2
	v_mul_u32_u24_sdwa v2, v8, v9 dst_sel:DWORD dst_unused:UNUSED_PAD src0_sel:WORD_0 src1_sel:DWORD
	v_lshlrev_b16 v5, 1, v18
	v_lshrrev_b32_e32 v2, 17, v2
	v_lshlrev_b32_sdwa v5, v81, v5 dst_sel:DWORD dst_unused:UNUSED_PAD src0_sel:DWORD src1_sel:WORD_0
	v_mul_lo_u16 v3, v2, 3
	v_sub_nc_u16 v3, v8, v3
	v_lshlrev_b16 v6, 1, v3
	v_lshlrev_b32_sdwa v6, v81, v6 dst_sel:DWORD dst_unused:UNUSED_PAD src0_sel:DWORD src1_sel:WORD_0
	s_clause 0x1
	global_load_dwordx4 v[213:216], v5, s[10:11]
	global_load_dwordx4 v[217:220], v6, s[10:11]
	ds_read2_b64 v[5:8], v93 offset0:24 offset1:132
	ds_read2_b64 v[12:15], v92 offset0:80 offset1:188
	v_mov_b32_e32 v93, 9
	v_sub_f32_e32 v92, v24, v26
	v_mul_u32_u24_sdwa v11, v11, v93 dst_sel:DWORD dst_unused:UNUSED_PAD src0_sel:WORD_0 src1_sel:DWORD
	v_add_lshl_u32 v11, v11, v21, 3
	v_sub_f32_e32 v21, v34, v36
	buffer_store_dword v11, off, s[20:23], 0 offset:340 ; 4-byte Folded Spill
	s_waitcnt vmcnt(1) lgkmcnt(1)
	v_mul_f32_e32 v9, v6, v214
	v_mul_f32_e32 v47, v5, v214
	v_fma_f32 v46, v5, v213, -v9
	s_waitcnt vmcnt(0)
	v_mul_f32_e32 v5, v8, v218
	v_fmac_f32_e32 v47, v6, v213
	s_waitcnt lgkmcnt(0)
	v_mul_f32_e32 v6, v13, v216
	v_mul_f32_e32 v9, v12, v216
	v_fma_f32 v45, v7, v217, -v5
	v_mul_f32_e32 v5, v7, v218
	v_mul_f32_e32 v7, v14, v220
	v_fmac_f32_e32 v9, v13, v215
	v_fmac_f32_e32 v5, v8, v217
	v_fma_f32 v8, v12, v215, -v6
	v_mul_f32_e32 v6, v15, v220
	v_fmac_f32_e32 v7, v15, v219
	v_fma_f32 v6, v14, v219, -v6
	ds_read2_b64 v[12:15], v125 offset1:108
	s_waitcnt lgkmcnt(0)
	v_add_f32_e32 v28, v13, v25
	v_add_f32_e32 v25, v25, v27
	;; [unrolled: 1-line block ×4, first 2 shown]
	v_fma_f32 v13, -0.5, v25, v13
	v_add_f32_e32 v28, v27, v26
	v_add_f32_e32 v27, v24, v26
	v_fmamk_f32 v31, v92, 0xbf5db3d7, v13
	v_fmac_f32_e32 v13, 0x3f5db3d7, v92
	v_fma_f32 v12, -0.5, v27, v12
	ds_read2_b64 v[24:27], v80 offset0:88 offset1:196
	ds_read2_b64 v[48:51], v96 offset0:48 offset1:156
	;; [unrolled: 1-line block ×4, first 2 shown]
	s_waitcnt lgkmcnt(0)
	s_waitcnt_vscnt null, 0x0
	s_barrier
	buffer_gl0_inv
	v_fmamk_f32 v30, v91, 0x3f5db3d7, v12
	v_fmac_f32_e32 v12, 0xbf5db3d7, v91
	ds_write2_b64 v11, v[28:29], v[30:31] offset1:3
	ds_write_b64 v11, v[12:13] offset:48
	v_mul_u32_u24_sdwa v12, v10, v93 dst_sel:DWORD dst_unused:UNUSED_PAD src0_sel:WORD_0 src1_sel:DWORD
	v_add_f32_e32 v10, v15, v34
	v_add_f32_e32 v13, v34, v36
	;; [unrolled: 1-line block ×3, first 2 shown]
	v_sub_f32_e32 v29, v33, v35
	v_add_lshl_u32 v23, v12, v23, 3
	v_add_f32_e32 v11, v10, v36
	v_add_f32_e32 v10, v14, v33
	v_fma_f32 v14, -0.5, v28, v14
	v_fmac_f32_e32 v15, -0.5, v13
	buffer_store_dword v23, off, s[20:23], 0 offset:344 ; 4-byte Folded Spill
	v_add_f32_e32 v10, v10, v35
	v_fmamk_f32 v12, v21, 0x3f5db3d7, v14
	v_fmamk_f32 v13, v29, 0xbf5db3d7, v15
	v_fmac_f32_e32 v14, 0xbf5db3d7, v21
	v_fmac_f32_e32 v15, 0x3f5db3d7, v29
	v_sub_f32_e32 v21, v42, v68
	ds_write2_b64 v23, v[10:11], v[12:13] offset1:3
	v_add_f32_e32 v10, v25, v42
	v_add_f32_e32 v13, v42, v68
	;; [unrolled: 1-line block ×3, first 2 shown]
	ds_write_b64 v23, v[14:15] offset:48
	v_mad_u16 v14, v37, 9, v39
	v_add_f32_e32 v11, v10, v68
	v_add_f32_e32 v10, v24, v41
	v_sub_f32_e32 v23, v41, v66
	v_fma_f32 v12, -0.5, v12, v24
	v_fma_f32 v13, -0.5, v13, v25
	v_lshlrev_b32_sdwa v24, v81, v14 dst_sel:DWORD dst_unused:UNUSED_PAD src0_sel:DWORD src1_sel:WORD_0
	v_add_f32_e32 v10, v10, v66
	v_fmamk_f32 v14, v21, 0x3f5db3d7, v12
	v_fmamk_f32 v15, v23, 0xbf5db3d7, v13
	v_fmac_f32_e32 v12, 0xbf5db3d7, v21
	v_fmac_f32_e32 v13, 0x3f5db3d7, v23
	v_sub_f32_e32 v21, v43, v69
	v_sub_f32_e32 v23, v75, v79
	ds_write2_b64 v24, v[10:11], v[14:15] offset1:3
	v_add_f32_e32 v10, v27, v65
	ds_write_b64 v24, v[12:13] offset:48
	v_add_f32_e32 v13, v65, v70
	v_add_f32_e32 v15, v43, v69
	v_mad_u16 v12, v38, 9, v40
	v_sub_f32_e32 v14, v65, v70
	v_add_f32_e32 v11, v10, v70
	v_add_f32_e32 v10, v26, v43
	v_fma_f32 v26, -0.5, v15, v26
	v_fmac_f32_e32 v27, -0.5, v13
	v_lshlrev_b32_sdwa v15, v81, v12 dst_sel:DWORD dst_unused:UNUSED_PAD src0_sel:DWORD src1_sel:WORD_0
	buffer_store_dword v24, off, s[20:23], 0 offset:348 ; 4-byte Folded Spill
	v_add_f32_e32 v10, v10, v69
	v_fmamk_f32 v12, v14, 0x3f5db3d7, v26
	v_fmamk_f32 v13, v21, 0xbf5db3d7, v27
	v_fmac_f32_e32 v26, 0xbf5db3d7, v14
	v_fmac_f32_e32 v27, 0x3f5db3d7, v21
	v_mad_u16 v14, v73, 9, v74
	v_sub_f32_e32 v21, v76, v82
	ds_write2_b64 v15, v[10:11], v[12:13] offset1:3
	v_add_f32_e32 v10, v49, v76
	v_add_f32_e32 v13, v76, v82
	;; [unrolled: 1-line block ×3, first 2 shown]
	buffer_store_dword v15, off, s[20:23], 0 offset:352 ; 4-byte Folded Spill
	ds_write_b64 v15, v[26:27] offset:48
	v_add_f32_e32 v11, v10, v82
	v_add_f32_e32 v10, v48, v75
	v_fma_f32 v12, -0.5, v12, v48
	v_fma_f32 v13, -0.5, v13, v49
	v_lshlrev_b32_sdwa v24, v81, v14 dst_sel:DWORD dst_unused:UNUSED_PAD src0_sel:DWORD src1_sel:WORD_0
	v_mov_b32_e32 v74, v95
	v_add_f32_e32 v10, v10, v79
	v_fmamk_f32 v14, v21, 0x3f5db3d7, v12
	v_fmamk_f32 v15, v23, 0xbf5db3d7, v13
	v_fmac_f32_e32 v12, 0xbf5db3d7, v21
	v_fmac_f32_e32 v13, 0x3f5db3d7, v23
	v_sub_f32_e32 v21, v77, v83
	buffer_store_dword v24, off, s[20:23], 0 offset:356 ; 4-byte Folded Spill
	ds_write2_b64 v24, v[10:11], v[14:15] offset1:3
	v_add_f32_e32 v10, v51, v78
	ds_write_b64 v24, v[12:13] offset:48
	v_add_f32_e32 v13, v78, v84
	v_add_f32_e32 v15, v77, v83
	v_mad_u16 v12, v71, 9, v72
	v_sub_f32_e32 v14, v78, v84
	v_add_f32_e32 v11, v10, v84
	v_add_f32_e32 v10, v50, v77
	v_fma_f32 v50, -0.5, v15, v50
	v_fmac_f32_e32 v51, -0.5, v13
	v_lshlrev_b32_sdwa v15, v81, v12 dst_sel:DWORD dst_unused:UNUSED_PAD src0_sel:DWORD src1_sel:WORD_0
	v_sub_f32_e32 v23, v87, v89
	v_add_f32_e32 v10, v10, v83
	v_fmamk_f32 v12, v14, 0x3f5db3d7, v50
	v_fmamk_f32 v13, v21, 0xbf5db3d7, v51
	v_fmac_f32_e32 v50, 0xbf5db3d7, v14
	v_fmac_f32_e32 v51, 0x3f5db3d7, v21
	v_sub_f32_e32 v21, v88, v90
	v_mad_u16 v24, v85, 9, v86
	ds_write2_b64 v15, v[10:11], v[12:13] offset1:3
	v_add_f32_e32 v10, v53, v88
	v_add_f32_e32 v13, v88, v90
	;; [unrolled: 1-line block ×3, first 2 shown]
	buffer_store_dword v15, off, s[20:23], 0 offset:360 ; 4-byte Folded Spill
	ds_write_b64 v15, v[50:51] offset:48
	v_add_f32_e32 v11, v10, v90
	v_add_f32_e32 v10, v52, v87
	v_fma_f32 v12, -0.5, v12, v52
	v_fma_f32 v13, -0.5, v13, v53
	v_lshlrev_b32_sdwa v24, v81, v24 dst_sel:DWORD dst_unused:UNUSED_PAD src0_sel:DWORD src1_sel:WORD_0
	v_mov_b32_e32 v75, v165
	v_add_f32_e32 v10, v10, v89
	v_fmamk_f32 v14, v21, 0x3f5db3d7, v12
	v_fmamk_f32 v15, v23, 0xbf5db3d7, v13
	v_fmac_f32_e32 v12, 0xbf5db3d7, v21
	v_fmac_f32_e32 v13, 0x3f5db3d7, v23
	buffer_store_dword v24, off, s[20:23], 0 offset:376 ; 4-byte Folded Spill
	v_mov_b32_e32 v78, v166
	ds_write2_b64 v24, v[10:11], v[14:15] offset1:3
	v_add_f32_e32 v10, v19, v44
	ds_write_b64 v24, v[12:13] offset:48
	v_add_f32_e32 v12, v54, v19
	v_add_f32_e32 v13, v22, v4
	v_sub_f32_e32 v14, v22, v4
	v_fma_f32 v54, -0.5, v10, v54
	v_add_f32_e32 v10, v55, v22
	v_mov_b32_e32 v76, v169
	v_fmac_f32_e32 v55, -0.5, v13
	v_mad_u16 v13, v17, 9, v18
	v_add_f32_e32 v11, v10, v4
	v_add_f32_e32 v10, v12, v44
	v_sub_f32_e32 v4, v19, v44
	v_mad_u16 v12, v0, 9, v1
	v_fmamk_f32 v0, v14, 0x3f5db3d7, v54
	v_fmac_f32_e32 v54, 0xbf5db3d7, v14
	v_lshlrev_b32_sdwa v13, v81, v13 dst_sel:DWORD dst_unused:UNUSED_PAD src0_sel:DWORD src1_sel:WORD_0
	v_fmamk_f32 v1, v4, 0xbf5db3d7, v55
	v_lshlrev_b32_sdwa v12, v81, v12 dst_sel:DWORD dst_unused:UNUSED_PAD src0_sel:DWORD src1_sel:WORD_0
	v_fmac_f32_e32 v55, 0x3f5db3d7, v4
	v_sub_f32_e32 v4, v47, v9
	buffer_store_dword v13, off, s[20:23], 0 offset:368 ; 4-byte Folded Spill
	ds_write2_b64 v12, v[10:11], v[0:1] offset1:3
	v_add_f32_e32 v1, v61, v47
	v_add_f32_e32 v0, v60, v46
	;; [unrolled: 1-line block ×3, first 2 shown]
	buffer_store_dword v12, off, s[20:23], 0 offset:372 ; 4-byte Folded Spill
	ds_write_b64 v12, v[54:55] offset:48
	v_add_f32_e32 v1, v1, v9
	v_add_f32_e32 v9, v46, v8
	;; [unrolled: 1-line block ×3, first 2 shown]
	v_fma_f32 v10, -0.5, v10, v61
	v_sub_f32_e32 v8, v46, v8
	v_mov_b32_e32 v61, v170
	v_fma_f32 v9, -0.5, v9, v60
	v_mov_b32_e32 v60, v156
	v_fmamk_f32 v12, v8, 0xbf5db3d7, v10
	v_fmac_f32_e32 v10, 0x3f5db3d7, v8
	v_fmamk_f32 v11, v4, 0x3f5db3d7, v9
	v_fmac_f32_e32 v9, 0xbf5db3d7, v4
	v_add_f32_e32 v4, v62, v45
	v_add_f32_e32 v8, v5, v7
	v_mov_b32_e32 v79, v61
	ds_write2_b64 v13, v[0:1], v[11:12] offset1:3
	v_add_f32_e32 v0, v45, v6
	ds_write_b64 v13, v[9:10] offset:48
	v_fma_f32 v62, -0.5, v0, v62
	v_add_f32_e32 v0, v63, v5
	v_sub_f32_e32 v5, v5, v7
	v_fmac_f32_e32 v63, -0.5, v8
	v_add_f32_e32 v1, v0, v7
	v_add_f32_e32 v0, v4, v6
	v_sub_f32_e32 v4, v45, v6
	v_mad_u16 v6, v2, 9, v3
	v_fmamk_f32 v2, v5, 0x3f5db3d7, v62
	v_fmac_f32_e32 v62, 0xbf5db3d7, v5
	v_fmamk_f32 v3, v4, 0xbf5db3d7, v63
	v_lshlrev_b32_sdwa v6, v81, v6 dst_sel:DWORD dst_unused:UNUSED_PAD src0_sel:DWORD src1_sel:WORD_0
	v_fmac_f32_e32 v63, 0x3f5db3d7, v4
	ds_write2_b64 v6, v[0:1], v[2:3] offset1:3
	v_mul_lo_u16 v0, v16, 57
	buffer_store_dword v6, off, s[20:23], 0 offset:364 ; 4-byte Folded Spill
	ds_write_b64 v6, v[62:63] offset:48
	s_waitcnt lgkmcnt(0)
	s_waitcnt_vscnt null, 0x0
	s_barrier
	v_lshrrev_b16 v48, 9, v0
	v_mul_lo_u16 v0, v20, 57
	buffer_gl0_inv
	v_mov_b32_e32 v62, v96
	v_mov_b32_e32 v63, v164
	v_lshrrev_b16 v8, 9, v0
	v_mul_lo_u16 v0, v48, 9
	v_mov_b32_e32 v103, v62
	v_mul_lo_u16 v1, v8, 9
	v_sub_nc_u16 v0, v67, v0
	v_sub_nc_u16 v1, v59, v1
	v_and_b32_e32 v49, 0xff, v0
	v_and_b32_e32 v22, 0xff, v1
	v_mad_u64_u32 v[4:5], null, 0x48, v49, s[10:11]
	ds_read2_b64 v[0:3], v231 offset0:136 offset1:244
	s_clause 0x1
	global_load_dwordx4 v[14:17], v[4:5], off offset:48
	global_load_dwordx4 v[209:212], v[4:5], off offset:64
	s_waitcnt vmcnt(1) lgkmcnt(0)
	v_mul_f32_e32 v6, v1, v17
	v_mul_f32_e32 v126, v0, v17
	v_fma_f32 v128, v0, v16, -v6
	v_mad_u64_u32 v[6:7], null, 0x48, v22, s[10:11]
	s_clause 0x1
	global_load_dwordx2 v[10:11], v[4:5], off offset:112
	global_load_dwordx4 v[196:199], v[6:7], off offset:48
	v_fmac_f32_e32 v126, v1, v16
	s_waitcnt vmcnt(0)
	v_mul_f32_e32 v0, v3, v199
	v_mul_f32_e32 v120, v2, v199
	v_fma_f32 v121, v2, v198, -v0
	v_fmac_f32_e32 v120, v3, v198
	ds_read2_b64 v[0:3], v232 offset0:16 offset1:124
	s_clause 0x3
	global_load_dwordx4 v[192:195], v[6:7], off offset:64
	global_load_dwordx4 v[184:187], v[6:7], off offset:80
	;; [unrolled: 1-line block ×4, first 2 shown]
	s_waitcnt lgkmcnt(0)
	v_mul_f32_e32 v9, v1, v212
	v_mul_f32_e32 v140, v0, v212
	v_fma_f32 v141, v0, v211, -v9
	v_fmac_f32_e32 v140, v1, v211
	v_mov_b32_e32 v9, 0x5a
	s_waitcnt vmcnt(3)
	v_mul_f32_e32 v0, v3, v195
	v_mul_f32_e32 v123, v2, v195
	v_fma_f32 v52, v2, v194, -v0
	v_fmac_f32_e32 v123, v3, v194
	ds_read2_b64 v[0:3], v95 offset0:24 offset1:132
	s_waitcnt vmcnt(1) lgkmcnt(0)
	v_mul_f32_e32 v4, v1, v191
	v_mul_f32_e32 v142, v0, v191
	;; [unrolled: 1-line block ×3, first 2 shown]
	v_fma_f32 v143, v0, v190, -v4
	v_mul_f32_e32 v0, v3, v187
	v_fmac_f32_e32 v142, v1, v190
	v_fmac_f32_e32 v127, v3, v186
	v_sub_f32_e32 v34, v141, v143
	v_fma_f32 v129, v2, v186, -v0
	ds_read2_b64 v[0:3], v94 offset0:32 offset1:140
	s_clause 0x1
	global_load_dwordx2 v[12:13], v[6:7], off offset:112
	global_load_dwordx4 v[84:87], v[6:7], off offset:96
	v_add_f32_e32 v27, v140, v142
	v_sub_f32_e32 v30, v140, v142
	s_waitcnt vmcnt(2) lgkmcnt(0)
	v_mul_f32_e32 v4, v1, v175
	v_mul_f32_e32 v144, v0, v175
	v_fma_f32 v145, v0, v174, -v4
	v_fmac_f32_e32 v144, v1, v174
	v_sub_f32_e32 v33, v128, v145
	v_sub_f32_e32 v29, v126, v144
	;; [unrolled: 1-line block ×3, first 2 shown]
	v_add_f32_e32 v39, v126, v144
	s_waitcnt vmcnt(0)
	v_mul_f32_e32 v0, v3, v87
	v_mul_f32_e32 v130, v2, v87
	v_fma_f32 v131, v2, v86, -v0
	v_mov_b32_e32 v0, 0xe38f
	v_fmac_f32_e32 v130, v3, v86
	v_mul_u32_u24_sdwa v0, v58, v0 dst_sel:DWORD dst_unused:UNUSED_PAD src0_sel:WORD_0 src1_sel:DWORD
	v_lshrrev_b32_e32 v109, 19, v0
	v_mul_lo_u16 v0, v109, 9
	v_sub_nc_u16 v112, v58, v0
	v_mul_lo_u16 v0, 0x48, v112
	v_and_b32_e32 v0, 0xffff, v0
	v_add_co_u32 v4, s6, s10, v0
	v_add_co_ci_u32_e64 v5, null, s11, 0, s6
	ds_read2_b64 v[0:3], v96 offset0:48 offset1:156
	s_clause 0x1
	global_load_dwordx4 v[180:183], v[4:5], off offset:48
	global_load_dwordx4 v[200:203], v[4:5], off offset:64
	v_mov_b32_e32 v96, v168
	s_waitcnt lgkmcnt(0)
	v_mul_f32_e32 v6, v1, v197
	v_mul_f32_e32 v124, v0, v197
	v_fma_f32 v122, v0, v196, -v6
	v_fmac_f32_e32 v124, v1, v196
	s_waitcnt vmcnt(1)
	v_mul_f32_e32 v0, v3, v181
	v_mul_f32_e32 v66, v2, v181
	v_fma_f32 v65, v2, v180, -v0
	v_fmac_f32_e32 v66, v3, v180
	ds_read2_b64 v[0:3], v166 offset0:96 offset1:204
	s_waitcnt lgkmcnt(0)
	v_mul_f32_e32 v6, v3, v210
	v_mul_f32_e32 v146, v2, v210
	v_mul_f32_e32 v92, v0, v183
	v_fma_f32 v147, v2, v209, -v6
	v_mul_f32_e32 v2, v1, v183
	v_fmac_f32_e32 v146, v3, v209
	v_fmac_f32_e32 v92, v1, v182
	v_fma_f32 v93, v0, v182, -v2
	ds_read2_b64 v[0:3], v155 offset0:56 offset1:164
	s_waitcnt lgkmcnt(0)
	v_mul_f32_e32 v6, v1, v193
	v_mul_f32_e32 v132, v0, v193
	s_waitcnt vmcnt(0)
	v_mul_f32_e32 v82, v2, v201
	v_fma_f32 v133, v0, v192, -v6
	v_mul_f32_e32 v0, v3, v201
	v_fmac_f32_e32 v132, v1, v192
	v_fmac_f32_e32 v82, v3, v200
	v_fma_f32 v83, v2, v200, -v0
	ds_read2_b64 v[0:3], v170 offset0:104 offset1:212
	s_waitcnt lgkmcnt(0)
	v_mul_f32_e32 v6, v3, v189
	v_mul_f32_e32 v148, v2, v189
	;; [unrolled: 1-line block ×3, first 2 shown]
	v_fma_f32 v149, v2, v188, -v6
	v_mul_f32_e32 v2, v1, v203
	v_fmac_f32_e32 v148, v3, v188
	v_fmac_f32_e32 v108, v1, v202
	v_sub_f32_e32 v41, v149, v147
	v_fma_f32 v110, v0, v202, -v2
	ds_read2_b64 v[0:3], v167 offset0:64 offset1:172
	s_clause 0x1
	global_load_dwordx4 v[88:91], v[4:5], off offset:80
	global_load_dwordx4 v[104:107], v[4:5], off offset:96
	v_sub_f32_e32 v44, v148, v146
	s_waitcnt lgkmcnt(0)
	v_mul_f32_e32 v6, v1, v185
	v_mul_f32_e32 v134, v0, v185
	v_fma_f32 v135, v0, v184, -v6
	v_fmac_f32_e32 v134, v1, v184
	s_waitcnt vmcnt(1)
	v_mul_f32_e32 v0, v3, v89
	v_mul_f32_e32 v94, v2, v89
	v_fma_f32 v95, v2, v88, -v0
	v_fmac_f32_e32 v94, v3, v88
	ds_read2_b64 v[0:3], v156 offset0:112 offset1:220
	s_waitcnt lgkmcnt(0)
	v_mul_f32_e32 v6, v3, v173
	v_mul_f32_e32 v150, v2, v173
	;; [unrolled: 1-line block ×3, first 2 shown]
	v_fma_f32 v151, v2, v172, -v6
	v_mul_f32_e32 v2, v1, v91
	v_fmac_f32_e32 v150, v3, v172
	v_fmac_f32_e32 v114, v1, v90
	v_sub_f32_e32 v19, v149, v151
	v_fma_f32 v115, v0, v90, -v2
	ds_read2_b64 v[0:3], v164 offset0:72 offset1:180
	v_sub_f32_e32 v23, v148, v150
	s_waitcnt lgkmcnt(0)
	v_mul_f32_e32 v6, v1, v85
	v_mul_f32_e32 v136, v0, v85
	s_waitcnt vmcnt(0)
	v_mul_f32_e32 v111, v2, v105
	v_fma_f32 v137, v0, v84, -v6
	v_mul_f32_e32 v0, v3, v105
	v_fmac_f32_e32 v136, v1, v84
	v_fmac_f32_e32 v111, v3, v104
	v_fma_f32 v113, v2, v104, -v0
	ds_read2_b64 v[0:3], v165 offset0:120 offset1:228
	buffer_store_dword v10, off, s[20:23], 0 offset:428 ; 4-byte Folded Spill
	buffer_store_dword v11, off, s[20:23], 0 offset:432 ; 4-byte Folded Spill
	s_waitcnt lgkmcnt(0)
	v_mul_f32_e32 v118, v0, v107
	v_fmac_f32_e32 v118, v1, v106
	v_mul_f32_e32 v6, v3, v11
	v_mul_f32_e32 v152, v2, v11
	v_fma_f32 v153, v2, v10, -v6
	global_load_dwordx2 v[5:6], v[4:5], off offset:112
	v_mul_f32_e32 v2, v1, v107
	v_fmac_f32_e32 v152, v3, v10
	v_sub_f32_e32 v18, v147, v153
	v_add_f32_e32 v42, v147, v153
	v_fma_f32 v119, v0, v106, -v2
	ds_read2_b64 v[0:3], v168 offset0:80 offset1:188
	buffer_store_dword v12, off, s[20:23], 0 offset:464 ; 4-byte Folded Spill
	buffer_store_dword v13, off, s[20:23], 0 offset:468 ; 4-byte Folded Spill
	v_sub_f32_e32 v21, v146, v152
	v_sub_f32_e32 v43, v151, v153
	v_add_f32_e32 v45, v146, v152
	v_sub_f32_e32 v46, v150, v152
	s_waitcnt vmcnt(0)
	buffer_store_dword v5, off, s[20:23], 0 offset:452 ; 4-byte Folded Spill
	buffer_store_dword v6, off, s[20:23], 0 offset:456 ; 4-byte Folded Spill
	s_waitcnt lgkmcnt(0)
	v_mul_f32_e32 v4, v1, v13
	v_mul_f32_e32 v138, v0, v13
	v_fma_f32 v139, v0, v12, -v4
	v_fmac_f32_e32 v138, v1, v12
	v_sub_f32_e32 v1, v145, v143
	v_mul_f32_e32 v0, v3, v6
	v_mul_f32_e32 v116, v2, v6
	v_fma_f32 v117, v2, v5, -v0
	v_mul_u32_u24_sdwa v0, v48, v9 dst_sel:DWORD dst_unused:UNUSED_PAD src0_sel:WORD_0 src1_sel:DWORD
	v_fmac_f32_e32 v116, v3, v5
	v_add_f32_e32 v5, v141, v143
	v_add_lshl_u32 v47, v0, v49, 3
	v_sub_f32_e32 v0, v128, v141
	ds_read2_b64 v[48:51], v80 offset0:88 offset1:196
	v_add_f32_e32 v10, v0, v1
	v_sub_f32_e32 v0, v126, v140
	v_sub_f32_e32 v1, v144, v142
	v_add_f32_e32 v11, v0, v1
	v_sub_f32_e32 v0, v147, v149
	v_sub_f32_e32 v1, v153, v151
	;; [unrolled: 3-line block ×3, first 2 shown]
	v_add_f32_e32 v13, v0, v1
	v_mov_b32_e32 v1, v14
	v_mov_b32_e32 v2, v15
	;; [unrolled: 1-line block ×4, first 2 shown]
	buffer_store_dword v1, off, s[20:23], 0 offset:556 ; 4-byte Folded Spill
	buffer_store_dword v2, off, s[20:23], 0 offset:560 ; 4-byte Folded Spill
	;; [unrolled: 1-line block ×4, first 2 shown]
	s_waitcnt lgkmcnt(0)
	v_mul_f32_e32 v0, v51, v2
	v_mul_f32_e32 v15, v50, v2
	v_fma_f32 v14, v50, v1, -v0
	v_add_f32_e32 v0, v149, v151
	v_fmac_f32_e32 v15, v51, v1
	v_mov_b32_e32 v51, v154
	v_add_f32_e32 v6, v14, v147
	v_fma_f32 v16, -0.5, v0, v14
	v_add_f32_e32 v0, v148, v150
	v_add_f32_e32 v7, v15, v146
	v_fmac_f32_e32 v14, -0.5, v42
	v_add_f32_e32 v6, v6, v149
	v_fmamk_f32 v1, v21, 0x3f737871, v16
	v_fma_f32 v17, -0.5, v0, v15
	v_add_f32_e32 v7, v7, v148
	v_fmac_f32_e32 v15, -0.5, v45
	v_add_f32_e32 v6, v6, v151
	v_fmac_f32_e32 v1, 0x3f167918, v23
	v_fmamk_f32 v0, v18, 0xbf737871, v17
	v_add_f32_e32 v7, v7, v150
	v_fmac_f32_e32 v16, 0xbf737871, v21
	v_add_f32_e32 v37, v6, v153
	v_fmac_f32_e32 v1, 0x3e9e377a, v12
	v_fmac_f32_e32 v0, 0xbf167918, v19
	v_add_f32_e32 v38, v7, v152
	v_fmac_f32_e32 v17, 0x3f737871, v18
	v_fmac_f32_e32 v16, 0xbf167918, v23
	v_mul_f32_e32 v25, 0xbf167918, v1
	v_fmac_f32_e32 v0, 0x3e9e377a, v13
	v_fmac_f32_e32 v17, 0x3f167918, v19
	;; [unrolled: 1-line block ×3, first 2 shown]
	v_sub_f32_e32 v12, v133, v139
	v_mul_f32_e32 v24, 0x3f167918, v0
	v_fmac_f32_e32 v25, 0x3f4f1bbd, v0
	v_fmac_f32_e32 v17, 0x3e9e377a, v13
	v_sub_f32_e32 v13, v135, v137
	v_fmac_f32_e32 v24, 0x3f4f1bbd, v1
	ds_read2_b64 v[0:3], v125 offset1:108
	s_waitcnt lgkmcnt(0)
	s_waitcnt_vscnt null, 0x0
	s_barrier
	buffer_gl0_inv
	buffer_store_dword v47, off, s[20:23], 0 offset:460 ; 4-byte Folded Spill
	buffer_store_dword v51, off, s[20:23], 0 offset:248 ; 4-byte Folded Spill
	v_add_f32_e32 v4, v0, v128
	v_fma_f32 v26, -0.5, v5, v0
	v_add_f32_e32 v5, v1, v126
	v_fma_f32 v27, -0.5, v27, v1
	v_fma_f32 v39, -0.5, v39, v1
	v_add_f32_e32 v4, v4, v141
	v_fmamk_f32 v31, v29, 0x3f737871, v26
	v_add_f32_e32 v5, v5, v140
	v_fmamk_f32 v35, v33, 0xbf737871, v27
	v_fmamk_f32 v1, v19, 0x3f737871, v15
	v_add_f32_e32 v4, v4, v143
	v_fmac_f32_e32 v31, 0x3f167918, v30
	v_add_f32_e32 v5, v5, v142
	v_fmac_f32_e32 v35, 0xbf167918, v34
	v_fmac_f32_e32 v15, 0xbf737871, v19
	v_add_f32_e32 v28, v4, v145
	v_fmac_f32_e32 v31, 0x3e9e377a, v10
	v_add_f32_e32 v36, v5, v144
	v_fmac_f32_e32 v35, 0x3e9e377a, v11
	v_fmac_f32_e32 v1, 0xbf167918, v18
	v_add_f32_e32 v4, v28, v37
	v_add_f32_e32 v6, v31, v24
	;; [unrolled: 1-line block ×4, first 2 shown]
	v_fmac_f32_e32 v15, 0x3f167918, v18
	v_fmac_f32_e32 v26, 0xbf737871, v29
	;; [unrolled: 1-line block ×3, first 2 shown]
	ds_write2_b64 v47, v[4:5], v[6:7] offset1:9
	v_sub_f32_e32 v4, v141, v128
	v_add_f32_e32 v5, v128, v145
	v_sub_f32_e32 v6, v143, v145
	v_sub_f32_e32 v7, v140, v126
	v_fmac_f32_e32 v26, 0xbf167918, v30
	v_fmac_f32_e32 v27, 0x3f167918, v34
	v_mov_b32_e32 v126, v60
	v_add_f32_e32 v4, v4, v6
	v_add_f32_e32 v6, v7, v40
	;; [unrolled: 1-line block ×3, first 2 shown]
	v_fma_f32 v41, -0.5, v5, v0
	v_fmamk_f32 v0, v23, 0xbf737871, v14
	v_fmac_f32_e32 v14, 0x3f737871, v23
	v_add_f32_e32 v40, v44, v46
	v_fmamk_f32 v43, v34, 0x3f737871, v39
	v_fmac_f32_e32 v39, 0xbf737871, v34
	v_fmac_f32_e32 v0, 0x3f167918, v21
	;; [unrolled: 1-line block ×3, first 2 shown]
	v_fmamk_f32 v42, v30, 0xbf737871, v41
	v_fmac_f32_e32 v41, 0x3f737871, v30
	v_fmac_f32_e32 v43, 0xbf167918, v33
	;; [unrolled: 1-line block ×8, first 2 shown]
	v_mul_f32_e32 v40, 0xbe9e377a, v14
	v_fmac_f32_e32 v41, 0xbf167918, v29
	v_fmac_f32_e32 v43, 0x3e9e377a, v6
	;; [unrolled: 1-line block ×3, first 2 shown]
	v_mul_f32_e32 v6, 0x3f737871, v1
	v_mul_f32_e32 v7, 0xbf737871, v0
	v_fmac_f32_e32 v40, 0x3f737871, v15
	v_mul_f32_e32 v15, 0xbe9e377a, v15
	v_fmac_f32_e32 v42, 0x3e9e377a, v4
	v_fmac_f32_e32 v41, 0x3e9e377a, v4
	;; [unrolled: 1-line block ×7, first 2 shown]
	v_mul_f32_e32 v10, 0xbf4f1bbd, v16
	v_mul_f32_e32 v11, 0xbf4f1bbd, v17
	v_add_f32_e32 v0, v42, v6
	v_add_f32_e32 v1, v43, v7
	;; [unrolled: 1-line block ×4, first 2 shown]
	v_fmac_f32_e32 v10, 0x3f167918, v17
	v_fmac_f32_e32 v11, 0xbf167918, v16
	v_sub_f32_e32 v14, v132, v138
	v_sub_f32_e32 v21, v120, v130
	ds_write2_b64 v47, v[0:1], v[4:5] offset0:18 offset1:27
	v_sub_f32_e32 v0, v28, v37
	v_sub_f32_e32 v1, v36, v38
	v_add_f32_e32 v4, v26, v10
	v_add_f32_e32 v5, v27, v11
	v_sub_f32_e32 v23, v123, v127
	ds_write2_b64 v47, v[4:5], v[0:1] offset0:36 offset1:45
	v_sub_f32_e32 v0, v31, v24
	v_sub_f32_e32 v1, v35, v25
	;; [unrolled: 1-line block ×6, first 2 shown]
	ds_write2_b64 v47, v[0:1], v[4:5] offset0:54 offset1:63
	v_sub_f32_e32 v0, v41, v40
	v_sub_f32_e32 v1, v39, v15
	;; [unrolled: 1-line block ×6, first 2 shown]
	ds_write2_b64 v47, v[0:1], v[4:5] offset0:72 offset1:81
	v_sub_f32_e32 v0, v121, v52
	v_sub_f32_e32 v1, v131, v129
	v_add_f32_e32 v5, v123, v127
	v_add_f32_e32 v6, v0, v1
	v_sub_f32_e32 v0, v120, v123
	v_sub_f32_e32 v1, v130, v127
	v_fma_f32 v24, -0.5, v5, v3
	v_add_f32_e32 v7, v0, v1
	v_sub_f32_e32 v0, v133, v135
	v_sub_f32_e32 v1, v139, v137
	v_fmamk_f32 v26, v25, 0xbf737871, v24
	v_fmac_f32_e32 v24, 0x3f737871, v25
	v_add_f32_e32 v10, v0, v1
	v_sub_f32_e32 v0, v132, v134
	v_sub_f32_e32 v1, v138, v136
	v_fmac_f32_e32 v26, 0xbf167918, v27
	v_fmac_f32_e32 v24, 0x3f167918, v27
	v_add_f32_e32 v11, v0, v1
	v_add_f32_e32 v1, v135, v137
	v_mul_u32_u24_sdwa v0, v8, v9 dst_sel:DWORD dst_unused:UNUSED_PAD src0_sel:WORD_0 src1_sel:DWORD
	v_fmac_f32_e32 v26, 0x3e9e377a, v7
	v_fmac_f32_e32 v24, 0x3e9e377a, v7
	v_fma_f32 v8, -0.5, v1, v122
	v_add_f32_e32 v1, v134, v136
	v_add_lshl_u32 v255, v0, v22, 3
	v_add_f32_e32 v0, v2, v121
	v_fmamk_f32 v4, v14, 0x3f737871, v8
	v_fma_f32 v9, -0.5, v1, v124
	v_fmac_f32_e32 v8, 0xbf737871, v14
	v_add_f32_e32 v0, v0, v52
	v_fmac_f32_e32 v4, 0x3f167918, v15
	v_fmamk_f32 v1, v12, 0xbf737871, v9
	v_fmac_f32_e32 v9, 0x3f737871, v12
	v_add_f32_e32 v0, v0, v129
	v_fmac_f32_e32 v8, 0xbf167918, v15
	v_fmac_f32_e32 v4, 0x3e9e377a, v10
	;; [unrolled: 1-line block ×4, first 2 shown]
	v_add_f32_e32 v18, v0, v131
	v_add_f32_e32 v0, v52, v129
	v_mul_f32_e32 v17, 0xbf167918, v4
	v_fmac_f32_e32 v1, 0x3e9e377a, v11
	v_fmac_f32_e32 v8, 0x3e9e377a, v10
	;; [unrolled: 1-line block ×3, first 2 shown]
	v_fma_f32 v19, -0.5, v0, v2
	v_add_f32_e32 v0, v3, v120
	v_mul_f32_e32 v16, 0x3f167918, v1
	v_fmac_f32_e32 v17, 0x3f4f1bbd, v1
	v_add_f32_e32 v1, v122, v133
	v_fmamk_f32 v22, v21, 0x3f737871, v19
	v_add_f32_e32 v0, v0, v123
	v_fmac_f32_e32 v16, 0x3f4f1bbd, v4
	v_add_f32_e32 v4, v124, v132
	v_add_f32_e32 v1, v1, v135
	v_fmac_f32_e32 v22, 0x3f167918, v23
	v_add_f32_e32 v0, v0, v127
	v_add_f32_e32 v5, v26, v17
	;; [unrolled: 1-line block ×4, first 2 shown]
	v_fmac_f32_e32 v22, 0x3e9e377a, v6
	v_add_f32_e32 v28, v0, v130
	v_fmac_f32_e32 v19, 0xbf737871, v21
	v_add_f32_e32 v4, v4, v136
	v_add_f32_e32 v29, v1, v139
	v_mul_f32_e32 v7, 0xbf4f1bbd, v9
	v_sub_f32_e32 v10, v83, v117
	v_fmac_f32_e32 v19, 0xbf167918, v23
	v_add_f32_e32 v30, v4, v138
	v_add_f32_e32 v0, v18, v29
	;; [unrolled: 1-line block ×3, first 2 shown]
	v_fmac_f32_e32 v7, 0xbf167918, v8
	v_fmac_f32_e32 v19, 0x3e9e377a, v6
	v_add_f32_e32 v1, v28, v30
	v_mul_f32_e32 v6, 0xbf4f1bbd, v8
	v_sub_f32_e32 v11, v95, v113
	ds_write2_b64 v255, v[0:1], v[4:5] offset1:9
	v_add_f32_e32 v4, v121, v131
	v_sub_f32_e32 v0, v52, v121
	v_sub_f32_e32 v1, v129, v131
	v_add_f32_e32 v5, v120, v130
	v_fmac_f32_e32 v6, 0x3f167918, v9
	v_fma_f32 v2, -0.5, v4, v2
	v_add_f32_e32 v4, v133, v139
	v_add_f32_e32 v0, v0, v1
	v_sub_f32_e32 v1, v123, v120
	v_fmac_f32_e32 v3, -0.5, v5
	v_fmamk_f32 v33, v23, 0xbf737871, v2
	v_fmac_f32_e32 v2, 0x3f737871, v23
	v_sub_f32_e32 v5, v137, v139
	v_fmac_f32_e32 v122, -0.5, v4
	v_sub_f32_e32 v4, v136, v138
	v_fmac_f32_e32 v33, 0x3f167918, v21
	v_fmac_f32_e32 v2, 0xbf167918, v21
	v_mov_b32_e32 v52, v155
	v_fmac_f32_e32 v33, 0x3e9e377a, v0
	v_fmac_f32_e32 v2, 0x3e9e377a, v0
	v_add_f32_e32 v0, v1, v31
	v_fmamk_f32 v31, v27, 0x3f737871, v3
	v_fmac_f32_e32 v3, 0xbf737871, v27
	v_sub_f32_e32 v1, v135, v133
	v_fmac_f32_e32 v31, 0xbf167918, v25
	v_fmac_f32_e32 v3, 0x3f167918, v25
	;; [unrolled: 1-line block ×4, first 2 shown]
	v_add_f32_e32 v0, v1, v5
	v_add_f32_e32 v1, v132, v138
	v_fmamk_f32 v5, v15, 0xbf737871, v122
	v_fmac_f32_e32 v122, 0x3f737871, v15
	v_fmac_f32_e32 v124, -0.5, v1
	v_sub_f32_e32 v1, v134, v132
	v_fmac_f32_e32 v5, 0x3f167918, v14
	v_fmac_f32_e32 v122, 0xbf167918, v14
	;; [unrolled: 1-line block ×4, first 2 shown]
	v_add_f32_e32 v0, v1, v4
	v_fmamk_f32 v1, v13, 0x3f737871, v124
	v_fmac_f32_e32 v124, 0xbf737871, v13
	v_mul_f32_e32 v35, 0xbf737871, v5
	v_mul_f32_e32 v36, 0xbe9e377a, v122
	v_sub_f32_e32 v13, v94, v111
	v_fmac_f32_e32 v1, 0xbf167918, v12
	v_fmac_f32_e32 v124, 0x3f167918, v12
	v_sub_f32_e32 v12, v82, v116
	v_fmac_f32_e32 v1, 0x3e9e377a, v0
	v_fmac_f32_e32 v124, 0x3e9e377a, v0
	v_mul_f32_e32 v34, 0x3f737871, v1
	v_mul_f32_e32 v37, 0xbe9e377a, v124
	v_fmac_f32_e32 v35, 0x3e9e377a, v1
	v_fmac_f32_e32 v36, 0x3f737871, v124
	;; [unrolled: 1-line block ×4, first 2 shown]
	v_add_f32_e32 v1, v31, v35
	v_add_f32_e32 v4, v2, v36
	;; [unrolled: 1-line block ×4, first 2 shown]
	ds_write2_b64 v255, v[0:1], v[4:5] offset0:18 offset1:27
	v_sub_f32_e32 v0, v18, v29
	v_sub_f32_e32 v1, v28, v30
	v_add_f32_e32 v4, v19, v6
	v_add_f32_e32 v5, v24, v7
	ds_write2_b64 v255, v[4:5], v[0:1] offset0:36 offset1:45
	v_sub_f32_e32 v0, v22, v16
	v_sub_f32_e32 v1, v26, v17
	;; [unrolled: 1-line block ×6, first 2 shown]
	v_mad_u16 v16, 0x5a, v109, v112
	ds_write2_b64 v255, v[0:1], v[4:5] offset0:54 offset1:63
	v_sub_f32_e32 v1, v3, v37
	v_sub_f32_e32 v0, v2, v36
	;; [unrolled: 1-line block ×6, first 2 shown]
	v_lshlrev_b32_sdwa v102, v81, v16 dst_sel:DWORD dst_unused:UNUSED_PAD src0_sel:DWORD src1_sel:WORD_0
	v_sub_f32_e32 v16, v114, v118
	ds_write2_b64 v255, v[0:1], v[2:3] offset0:72 offset1:81
	v_sub_f32_e32 v0, v93, v110
	v_sub_f32_e32 v1, v119, v115
	v_add_f32_e32 v3, v108, v114
	v_add_f32_e32 v2, v66, v82
	;; [unrolled: 1-line block ×3, first 2 shown]
	v_sub_f32_e32 v0, v92, v108
	v_sub_f32_e32 v1, v118, v114
	v_fma_f32 v23, -0.5, v3, v49
	v_add_f32_e32 v2, v2, v94
	v_add_f32_e32 v5, v0, v1
	v_sub_f32_e32 v0, v83, v95
	v_sub_f32_e32 v1, v117, v113
	v_fmamk_f32 v25, v24, 0xbf737871, v23
	v_add_f32_e32 v2, v2, v111
	v_fmac_f32_e32 v23, 0x3f737871, v24
	v_add_f32_e32 v6, v0, v1
	v_sub_f32_e32 v0, v82, v94
	v_sub_f32_e32 v1, v116, v111
	v_fmac_f32_e32 v25, 0xbf167918, v26
	v_add_f32_e32 v29, v2, v116
	v_fmac_f32_e32 v23, 0x3f167918, v26
	v_add_f32_e32 v7, v0, v1
	v_add_f32_e32 v0, v95, v113
	v_fmac_f32_e32 v25, 0x3e9e377a, v5
	v_fmac_f32_e32 v23, 0x3e9e377a, v5
	v_fma_f32 v8, -0.5, v0, v65
	v_add_f32_e32 v0, v94, v111
	v_fmamk_f32 v1, v12, 0x3f737871, v8
	v_fma_f32 v9, -0.5, v0, v66
	v_fmac_f32_e32 v8, 0xbf737871, v12
	v_fmac_f32_e32 v1, 0x3f167918, v13
	v_fmamk_f32 v0, v10, 0xbf737871, v9
	v_fmac_f32_e32 v9, 0x3f737871, v10
	v_fmac_f32_e32 v8, 0xbf167918, v13
	;; [unrolled: 1-line block ×6, first 2 shown]
	v_mul_f32_e32 v15, 0xbf167918, v1
	v_fmac_f32_e32 v0, 0x3e9e377a, v7
	v_fmac_f32_e32 v9, 0x3e9e377a, v7
	v_mul_f32_e32 v14, 0x3f167918, v0
	v_fmac_f32_e32 v15, 0x3f4f1bbd, v0
	v_add_f32_e32 v0, v48, v93
	v_mul_f32_e32 v5, 0xbf4f1bbd, v9
	v_fmac_f32_e32 v14, 0x3f4f1bbd, v1
	v_add_f32_e32 v1, v65, v83
	v_add_f32_e32 v0, v0, v110
	;; [unrolled: 1-line block ×3, first 2 shown]
	v_fmac_f32_e32 v5, 0xbf167918, v8
	v_add_f32_e32 v1, v1, v95
	v_add_f32_e32 v0, v0, v115
	;; [unrolled: 1-line block ×6, first 2 shown]
	v_fma_f32 v18, -0.5, v0, v48
	v_add_f32_e32 v0, v49, v92
	v_fmamk_f32 v21, v19, 0x3f737871, v18
	v_add_f32_e32 v0, v0, v108
	v_fmac_f32_e32 v18, 0xbf737871, v19
	v_fmac_f32_e32 v21, 0x3f167918, v22
	v_add_f32_e32 v0, v0, v114
	v_fmac_f32_e32 v18, 0xbf167918, v22
	v_fmac_f32_e32 v21, 0x3e9e377a, v4
	v_add_f32_e32 v27, v0, v118
	v_add_f32_e32 v0, v17, v28
	v_fmac_f32_e32 v18, 0x3e9e377a, v4
	v_mul_f32_e32 v4, 0xbf4f1bbd, v8
	v_add_f32_e32 v2, v21, v14
	v_add_f32_e32 v1, v27, v29
	v_fmac_f32_e32 v4, 0x3f167918, v9
	ds_write2_b64 v102, v[0:1], v[2:3] offset1:9
	v_add_f32_e32 v2, v93, v119
	v_sub_f32_e32 v0, v110, v93
	v_sub_f32_e32 v1, v115, v119
	v_add_f32_e32 v3, v92, v118
	v_fma_f32 v30, -0.5, v2, v48
	v_add_f32_e32 v2, v83, v117
	v_add_f32_e32 v0, v0, v1
	v_sub_f32_e32 v1, v108, v92
	v_fmac_f32_e32 v49, -0.5, v3
	v_fmamk_f32 v31, v22, 0xbf737871, v30
	v_fmac_f32_e32 v30, 0x3f737871, v22
	v_sub_f32_e32 v3, v113, v117
	v_fmac_f32_e32 v65, -0.5, v2
	v_sub_f32_e32 v2, v111, v116
	v_fmac_f32_e32 v31, 0x3f167918, v19
	v_fmac_f32_e32 v30, 0xbf167918, v19
	;; [unrolled: 1-line block ×4, first 2 shown]
	v_add_f32_e32 v0, v1, v16
	v_fmamk_f32 v16, v26, 0x3f737871, v49
	v_fmac_f32_e32 v49, 0xbf737871, v26
	v_sub_f32_e32 v1, v95, v83
	v_fmac_f32_e32 v16, 0xbf167918, v24
	v_fmac_f32_e32 v49, 0x3f167918, v24
	;; [unrolled: 1-line block ×4, first 2 shown]
	v_add_f32_e32 v0, v1, v3
	v_add_f32_e32 v1, v82, v116
	v_fmamk_f32 v3, v13, 0xbf737871, v65
	v_fmac_f32_e32 v65, 0x3f737871, v13
	v_fmac_f32_e32 v66, -0.5, v1
	v_sub_f32_e32 v1, v94, v82
	v_fmac_f32_e32 v3, 0x3f167918, v12
	v_fmac_f32_e32 v65, 0xbf167918, v12
	;; [unrolled: 1-line block ×4, first 2 shown]
	v_add_f32_e32 v0, v1, v2
	v_fmamk_f32 v1, v11, 0x3f737871, v66
	v_fmac_f32_e32 v66, 0xbf737871, v11
	v_mul_f32_e32 v34, 0xbf737871, v3
	v_mul_f32_e32 v35, 0xbe9e377a, v65
	v_fmac_f32_e32 v1, 0xbf167918, v10
	v_fmac_f32_e32 v66, 0x3f167918, v10
	;; [unrolled: 1-line block ×4, first 2 shown]
	v_mul_f32_e32 v33, 0x3f737871, v1
	v_mul_f32_e32 v36, 0xbe9e377a, v66
	v_fmac_f32_e32 v34, 0x3e9e377a, v1
	v_fmac_f32_e32 v35, 0x3f737871, v66
	v_fmac_f32_e32 v33, 0x3e9e377a, v3
	v_fmac_f32_e32 v36, 0xbf737871, v65
	v_add_f32_e32 v1, v16, v34
	v_add_f32_e32 v2, v30, v35
	v_mov_b32_e32 v65, v232
	v_add_f32_e32 v0, v31, v33
	v_add_f32_e32 v3, v49, v36
	v_mov_b32_e32 v124, v65
	ds_write2_b64 v102, v[0:1], v[2:3] offset0:18 offset1:27
	v_sub_f32_e32 v0, v17, v28
	v_sub_f32_e32 v1, v27, v29
	v_add_f32_e32 v2, v18, v4
	v_add_f32_e32 v3, v23, v5
	v_mov_b32_e32 v17, 0x2d83
	ds_write2_b64 v102, v[2:3], v[0:1] offset0:36 offset1:45
	v_sub_f32_e32 v0, v21, v14
	v_sub_f32_e32 v1, v25, v15
	;; [unrolled: 1-line block ×4, first 2 shown]
	ds_write2_b64 v102, v[0:1], v[2:3] offset0:54 offset1:63
	v_sub_f32_e32 v1, v49, v36
	v_sub_f32_e32 v0, v30, v35
	;; [unrolled: 1-line block ×4, first 2 shown]
	ds_write2_b64 v102, v[0:1], v[2:3] offset0:72 offset1:81
	v_add_nc_u32_e32 v0, 0xffffffa6, v154
	s_waitcnt lgkmcnt(0)
	s_waitcnt_vscnt null, 0x0
	s_barrier
	buffer_gl0_inv
	v_cndmask_b32_e32 v92, v0, v154, vcc_lo
	v_mul_i32_i24_e32 v0, 40, v92
	v_mul_hi_i32_i24_e32 v1, 40, v92
	v_add_co_u32 v4, vcc_lo, s10, v0
	v_mul_lo_u16 v0, 0xb7, v20
	v_add_co_ci_u32_e32 v5, vcc_lo, s11, v1, vcc_lo
	v_cmp_lt_u16_e32 vcc_lo, 0x59, v67
	v_lshrrev_b16 v82, 14, v0
	s_clause 0x2
	global_load_dwordx4 v[249:252], v[4:5], off offset:696
	global_load_dwordx4 v[241:244], v[4:5], off offset:712
	global_load_dwordx2 v[38:39], v[4:5], off offset:728
	v_mul_lo_u16 v0, 0x5a, v82
	v_sub_nc_u16 v6, v59, v0
	ds_read2_b64 v[0:3], v155 offset0:56 offset1:164
	v_and_b32_e32 v83, 0xff, v6
	v_mad_u64_u32 v[4:5], null, v83, 40, s[10:11]
	global_load_dwordx4 v[108:111], v[4:5], off offset:696
	s_waitcnt vmcnt(3) lgkmcnt(0)
	v_mul_f32_e32 v7, v1, v252
	v_mul_f32_e32 v21, v0, v252
	s_waitcnt vmcnt(1)
	v_mov_b32_e32 v40, v39
	v_mov_b32_e32 v39, v38
	v_fma_f32 v20, v0, v251, -v7
	v_fmac_f32_e32 v21, v1, v251
	s_waitcnt vmcnt(0)
	v_mul_f32_e32 v0, v3, v111
	v_mul_f32_e32 v25, v2, v111
	v_fma_f32 v19, v2, v110, -v0
	v_fmac_f32_e32 v25, v3, v110
	ds_read2_b64 v[0:3], v156 offset0:112 offset1:220
	s_clause 0x1
	global_load_dwordx2 v[13:14], v[4:5], off offset:728
	global_load_dwordx4 v[98:101], v[4:5], off offset:712
	s_waitcnt lgkmcnt(0)
	v_mul_f32_e32 v6, v1, v244
	v_mul_f32_e32 v28, v0, v244
	v_fma_f32 v23, v0, v243, -v6
	v_fmac_f32_e32 v28, v1, v243
	s_waitcnt vmcnt(0)
	v_mul_f32_e32 v0, v3, v101
	v_mul_f32_e32 v33, v2, v101
	v_fma_f32 v26, v2, v100, -v0
	v_mul_u32_u24_sdwa v0, v58, v17 dst_sel:DWORD dst_unused:UNUSED_PAD src0_sel:WORD_0 src1_sel:DWORD
	v_fmac_f32_e32 v33, v3, v100
	ds_read2_b64 v[1:4], v231 offset0:136 offset1:244
	v_lshrrev_b32_e32 v7, 20, v0
	v_mul_lo_u16 v0, 0x5a, v7
	v_sub_nc_u16 v136, v58, v0
	v_mul_lo_u16 v0, v136, 40
	s_waitcnt lgkmcnt(0)
	v_mul_f32_e32 v5, v2, v109
	v_mul_f32_e32 v15, v1, v109
	v_and_b32_e32 v0, 0xffff, v0
	v_fma_f32 v12, v1, v108, -v5
	v_fmac_f32_e32 v15, v2, v108
	v_add_co_u32 v10, s6, s10, v0
	v_add_co_ci_u32_e64 v11, null, s11, 0, s6
	s_clause 0x2
	global_load_dwordx4 v[112:115], v[10:11], off offset:696
	global_load_dwordx4 v[132:135], v[10:11], off offset:712
	global_load_dwordx2 v[10:11], v[10:11], off offset:728
	ds_read2_b64 v[116:119], v165 offset0:120 offset1:228
	s_waitcnt vmcnt(2)
	v_mul_f32_e32 v0, v4, v113
	v_mul_f32_e32 v120, v3, v113
	v_fma_f32 v2, v3, v112, -v0
	v_fmac_f32_e32 v120, v4, v112
	ds_read2_b64 v[3:6], v167 offset0:64 offset1:172
	buffer_store_dword v13, off, s[20:23], 0 offset:508 ; 4-byte Folded Spill
	buffer_store_dword v14, off, s[20:23], 0 offset:512 ; 4-byte Folded Spill
	s_waitcnt lgkmcnt(0)
	v_mul_f32_e32 v0, v4, v99
	v_mul_f32_e32 v35, v3, v99
	s_waitcnt vmcnt(1)
	v_mul_f32_e32 v8, v5, v133
	v_fma_f32 v34, v3, v98, -v0
	v_mul_f32_e32 v0, v6, v133
	v_fmac_f32_e32 v35, v4, v98
	v_fmac_f32_e32 v8, v6, v132
	v_fma_f32 v9, v5, v132, -v0
	v_mul_u32_u24_sdwa v0, v57, v17 dst_sel:DWORD dst_unused:UNUSED_PAD src0_sel:WORD_0 src1_sel:DWORD
	v_lshrrev_b32_e32 v0, 20, v0
	v_mul_lo_u16 v1, 0x5a, v0
	v_sub_nc_u16 v3, v57, v1
	v_mul_lo_u16 v1, v3, 40
	v_mad_u16 v0, 0x21c, v0, v3
	v_and_b32_e32 v1, 0xffff, v1
	v_lshlrev_b32_sdwa v0, v81, v0 dst_sel:DWORD dst_unused:UNUSED_PAD src0_sel:DWORD src1_sel:WORD_0
	v_mul_f32_e32 v4, v117, v14
	v_mul_f32_e32 v37, v116, v14
	v_fma_f32 v36, v116, v13, -v4
	v_add_co_u32 v4, s6, s10, v1
	v_add_co_ci_u32_e64 v5, null, s11, 0, s6
	v_fmac_f32_e32 v37, v117, v13
	global_load_dwordx4 v[128:131], v[4:5], off offset:696
	s_waitcnt vmcnt(1)
	buffer_store_dword v10, off, s[20:23], 0 offset:484 ; 4-byte Folded Spill
	buffer_store_dword v11, off, s[20:23], 0 offset:488 ; 4-byte Folded Spill
	v_mul_f32_e32 v1, v119, v11
	v_mul_f32_e32 v13, v118, v11
	v_fma_f32 v14, v118, v10, -v1
	v_fmac_f32_e32 v13, v119, v10
	ds_read2_b64 v[116:119], v232 offset0:16 offset1:124
	s_waitcnt lgkmcnt(0)
	v_mul_f32_e32 v1, v117, v115
	v_mul_f32_e32 v22, v116, v115
	s_waitcnt vmcnt(0)
	v_mul_f32_e32 v140, v118, v131
	v_fma_f32 v16, v116, v114, -v1
	v_mul_f32_e32 v1, v119, v131
	v_fmac_f32_e32 v22, v117, v114
	v_fmac_f32_e32 v140, v119, v130
	v_fma_f32 v122, v118, v130, -v1
	ds_read2_b64 v[116:119], v164 offset0:72 offset1:180
	s_clause 0x1
	global_load_dwordx2 v[41:42], v[4:5], off offset:728
	global_load_dwordx4 v[156:159], v[4:5], off offset:712
	s_waitcnt lgkmcnt(0)
	v_mul_f32_e32 v1, v117, v135
	v_mul_f32_e32 v27, v116, v135
	v_fma_f32 v24, v116, v134, -v1
	v_fmac_f32_e32 v27, v117, v134
	s_waitcnt vmcnt(0)
	v_mul_f32_e32 v1, v119, v159
	v_mul_f32_e32 v6, v118, v159
	v_fma_f32 v5, v118, v158, -v1
	v_mul_u32_u24_sdwa v1, v56, v17 dst_sel:DWORD dst_unused:UNUSED_PAD src0_sel:WORD_0 src1_sel:DWORD
	v_fmac_f32_e32 v6, v119, v158
	v_lshrrev_b32_e32 v95, 20, v1
	v_mul_lo_u16 v1, 0x5a, v95
	v_sub_nc_u16 v116, v56, v1
	ds_read2_b64 v[56:59], v166 offset0:96 offset1:204
	v_mul_lo_u16 v1, v116, 40
	v_and_b32_e32 v1, 0xffff, v1
	v_add_co_u32 v17, s6, s10, v1
	v_add_co_ci_u32_e64 v18, null, s11, 0, s6
	s_clause 0x1
	global_load_dwordx4 v[152:155], v[17:18], off offset:696
	global_load_dwordx4 v[160:163], v[17:18], off offset:712
	s_waitcnt lgkmcnt(0)
	v_mul_f32_e32 v4, v57, v129
	s_mul_hi_u32 s6, s0, 0xffffbfe0
	s_sub_i32 s6, s6, s0
	v_fma_f32 v121, v56, v128, -v4
	v_mul_f32_e32 v4, v56, v129
	v_fmac_f32_e32 v4, v57, v128
	s_waitcnt vmcnt(1)
	v_mul_f32_e32 v1, v59, v153
	v_mul_f32_e32 v94, v58, v153
	v_fma_f32 v93, v58, v152, -v1
	v_fmac_f32_e32 v94, v59, v152
	ds_read2_b64 v[56:59], v170 offset0:104 offset1:212
	s_waitcnt lgkmcnt(0)
	v_mul_f32_e32 v1, v59, v242
	v_mul_f32_e32 v30, v58, v242
	v_fma_f32 v29, v58, v241, -v1
	v_mul_f32_e32 v1, v57, v155
	v_fmac_f32_e32 v30, v59, v241
	v_fma_f32 v117, v56, v154, -v1
	v_mul_f32_e32 v1, v56, v155
	v_fmac_f32_e32 v1, v57, v154
	ds_read2_b64 v[56:59], v74 offset0:24 offset1:132
	s_waitcnt lgkmcnt(0)
	v_mul_f32_e32 v10, v57, v157
	s_waitcnt vmcnt(0)
	v_mul_f32_e32 v31, v59, v161
	v_mul_f32_e32 v118, v58, v161
	v_fma_f32 v11, v56, v156, -v10
	v_mul_f32_e32 v10, v56, v157
	v_fma_f32 v119, v58, v160, -v31
	v_fmac_f32_e32 v118, v59, v160
	v_fmac_f32_e32 v10, v57, v156
	ds_read2_b64 v[56:59], v169 offset0:32 offset1:140
	buffer_store_dword v39, off, s[20:23], 0 offset:500 ; 4-byte Folded Spill
	buffer_store_dword v40, off, s[20:23], 0 offset:504 ; 4-byte Folded Spill
	global_load_dwordx2 v[229:230], v[17:18], off offset:728
	s_waitcnt lgkmcnt(0)
	v_mul_f32_e32 v139, v56, v163
	v_fmac_f32_e32 v139, v57, v162
	v_mul_f32_e32 v31, v59, v40
	v_mul_f32_e32 v38, v58, v40
	v_sub_f32_e32 v40, v21, v28
	v_fma_f32 v31, v58, v39, -v31
	v_fmac_f32_e32 v38, v59, v39
	v_mul_f32_e32 v39, v57, v163
	v_add_f32_e32 v45, v29, v31
	v_sub_f32_e32 v46, v29, v31
	v_fma_f32 v123, v56, v162, -v39
	ds_read2_b64 v[56:59], v168 offset0:80 offset1:188
	buffer_store_dword v41, off, s[20:23], 0 offset:516 ; 4-byte Folded Spill
	buffer_store_dword v42, off, s[20:23], 0 offset:520 ; 4-byte Folded Spill
	ds_read2_b64 v[141:144], v125 offset1:108
	ds_read2_b64 v[145:148], v80 offset0:88 offset1:196
	s_waitcnt vmcnt(0) lgkmcnt(2)
	v_mul_f32_e32 v39, v59, v230
	v_mul_f32_e32 v137, v58, v230
	v_fma_f32 v138, v58, v229, -v39
	v_fmac_f32_e32 v137, v59, v229
	s_waitcnt lgkmcnt(1)
	v_add_f32_e32 v39, v142, v21
	v_add_f32_e32 v21, v21, v28
	;; [unrolled: 1-line block ×4, first 2 shown]
	v_fma_f32 v21, -0.5, v21, v142
	v_mul_f32_e32 v17, v57, v42
	v_fma_f32 v18, v56, v41, -v17
	v_mul_f32_e32 v17, v56, v42
	v_add_f32_e32 v42, v30, v38
	v_fmac_f32_e32 v17, v57, v41
	ds_read2_b64 v[56:59], v62 offset0:48 offset1:156
	v_add_f32_e32 v41, v28, v23
	v_add_f32_e32 v28, v20, v23
	v_sub_f32_e32 v20, v20, v23
	v_fma_f32 v48, -0.5, v28, v141
	v_fmamk_f32 v50, v20, 0xbf5db3d7, v21
	v_fmac_f32_e32 v21, 0x3f5db3d7, v20
	v_fmamk_f32 v49, v40, 0x3f5db3d7, v48
	v_fmac_f32_e32 v48, 0xbf5db3d7, v40
	s_waitcnt lgkmcnt(0)
	v_mul_f32_e32 v23, v58, v250
	v_fmac_f32_e32 v23, v59, v249
	v_add_f32_e32 v43, v23, v30
	v_fmac_f32_e32 v23, -0.5, v42
	v_mul_f32_e32 v42, v59, v250
	v_mov_b32_e32 v59, v167
	v_fma_f32 v42, v58, v249, -v42
	v_mov_b32_e32 v77, v59
	v_add_f32_e32 v44, v42, v29
	v_fmac_f32_e32 v42, -0.5, v45
	v_sub_f32_e32 v45, v30, v38
	v_fmamk_f32 v29, v46, 0xbf5db3d7, v23
	v_add_f32_e32 v38, v43, v38
	v_fmac_f32_e32 v23, 0x3f5db3d7, v46
	v_add_f32_e32 v44, v44, v31
	v_fmamk_f32 v30, v45, 0x3f5db3d7, v42
	v_fmac_f32_e32 v42, 0xbf5db3d7, v45
	v_mul_f32_e32 v43, 0x3f5db3d7, v29
	v_add_f32_e32 v28, v41, v44
	v_mul_f32_e32 v47, 0xbf5db3d7, v30
	v_mul_f32_e32 v20, -0.5, v42
	v_fmac_f32_e32 v43, 0.5, v30
	v_fmac_f32_e32 v47, 0.5, v29
	v_cndmask_b32_e64 v29, 0, 0x21c, vcc_lo
	v_fmac_f32_e32 v20, 0x3f5db3d7, v23
	v_mul_f32_e32 v23, -0.5, v23
	v_add_f32_e32 v30, v49, v43
	v_add_f32_e32 v31, v50, v47
	v_add_lshl_u32 v53, v92, v29, 3
	v_add_f32_e32 v29, v39, v38
	v_fmac_f32_e32 v23, 0xbf5db3d7, v42
	buffer_store_dword v53, off, s[20:23], 0 offset:480 ; 4-byte Folded Spill
	s_waitcnt_vscnt null, 0x0
	s_barrier
	buffer_gl0_inv
	ds_write2_b64 v53, v[28:29], v[30:31] offset1:90
	v_sub_f32_e32 v28, v41, v44
	v_sub_f32_e32 v29, v39, v38
	v_add_f32_e32 v30, v48, v20
	v_add_f32_e32 v31, v21, v23
	v_add_nc_u32_e32 v38, 0x400, v53
	ds_write2_b64 v38, v[30:31], v[28:29] offset0:52 offset1:142
	v_sub_f32_e32 v28, v49, v43
	v_sub_f32_e32 v29, v50, v47
	;; [unrolled: 1-line block ×4, first 2 shown]
	v_add_nc_u32_e32 v20, 0x800, v53
	v_add_f32_e32 v21, v25, v33
	v_sub_f32_e32 v23, v25, v33
	buffer_store_dword v38, off, s[20:23], 0 offset:472 ; 4-byte Folded Spill
	buffer_store_dword v20, off, s[20:23], 0 offset:476 ; 4-byte Folded Spill
	ds_write2_b64 v20, v[28:29], v[30:31] offset0:104 offset1:194
	v_add_f32_e32 v20, v144, v25
	v_fmac_f32_e32 v144, -0.5, v21
	v_add_f32_e32 v21, v143, v19
	v_add_f32_e32 v25, v19, v26
	v_sub_f32_e32 v19, v19, v26
	v_add_f32_e32 v29, v35, v37
	v_add_f32_e32 v28, v12, v34
	;; [unrolled: 1-line block ×4, first 2 shown]
	v_sub_f32_e32 v30, v35, v37
	v_sub_f32_e32 v34, v34, v36
	v_add_f32_e32 v20, v20, v33
	v_add_f32_e32 v33, v28, v36
	v_fmac_f32_e32 v12, -0.5, v26
	v_add_f32_e32 v26, v15, v35
	v_fmac_f32_e32 v15, -0.5, v29
	v_fmamk_f32 v39, v19, 0xbf5db3d7, v144
	v_fmac_f32_e32 v144, 0x3f5db3d7, v19
	v_fmamk_f32 v29, v30, 0x3f5db3d7, v12
	v_fmac_f32_e32 v12, 0xbf5db3d7, v30
	v_fmamk_f32 v28, v34, 0xbf5db3d7, v15
	v_add_f32_e32 v31, v26, v37
	v_mov_b32_e32 v26, 0x21c
	v_mul_f32_e32 v36, 0xbf5db3d7, v29
	v_fma_f32 v37, -0.5, v25, v143
	v_mul_f32_e32 v35, 0x3f5db3d7, v28
	v_fmac_f32_e32 v15, 0x3f5db3d7, v34
	v_mul_f32_e32 v19, -0.5, v12
	v_mul_u32_u24_sdwa v26, v82, v26 dst_sel:DWORD dst_unused:UNUSED_PAD src0_sel:WORD_0 src1_sel:DWORD
	v_fmac_f32_e32 v36, 0.5, v28
	v_fmac_f32_e32 v35, 0.5, v29
	v_fmamk_f32 v38, v23, 0x3f5db3d7, v37
	v_fmac_f32_e32 v19, 0x3f5db3d7, v15
	v_mul_f32_e32 v15, -0.5, v15
	v_add_lshl_u32 v40, v26, v83, 3
	v_add_f32_e32 v25, v21, v33
	v_add_f32_e32 v26, v20, v31
	;; [unrolled: 1-line block ×4, first 2 shown]
	v_fmac_f32_e32 v37, 0xbf5db3d7, v23
	v_fmac_f32_e32 v15, 0xbf5db3d7, v12
	v_add_nc_u32_e32 v12, 0x400, v40
	v_add_f32_e32 v23, v120, v8
	ds_write2_b64 v40, v[25:26], v[28:29] offset1:90
	v_sub_f32_e32 v25, v21, v33
	v_sub_f32_e32 v26, v20, v31
	v_add_f32_e32 v28, v37, v19
	v_add_f32_e32 v29, v144, v15
	buffer_store_dword v12, off, s[20:23], 0 offset:396 ; 4-byte Folded Spill
	v_add_f32_e32 v20, v145, v16
	v_add_f32_e32 v21, v16, v24
	v_sub_f32_e32 v16, v16, v24
	ds_write2_b64 v12, v[28:29], v[25:26] offset0:52 offset1:142
	v_sub_f32_e32 v26, v144, v15
	v_sub_f32_e32 v25, v37, v19
	;; [unrolled: 1-line block ×4, first 2 shown]
	v_add_nc_u32_e32 v12, 0x800, v40
	v_sub_f32_e32 v19, v22, v27
	v_add_f32_e32 v20, v20, v24
	v_add_f32_e32 v24, v9, v14
	;; [unrolled: 1-line block ×3, first 2 shown]
	buffer_store_dword v12, off, s[20:23], 0 offset:400 ; 4-byte Folded Spill
	ds_write2_b64 v12, v[28:29], v[25:26] offset0:104 offset1:194
	v_add_f32_e32 v12, v146, v22
	v_fma_f32 v21, -0.5, v21, v145
	v_mad_u16 v26, 0x21c, v7, v136
	buffer_store_dword v40, off, s[20:23], 0 offset:436 ; 4-byte Folded Spill
	v_add_f32_e32 v15, v12, v27
	v_add_f32_e32 v12, v22, v27
	;; [unrolled: 1-line block ×3, first 2 shown]
	v_fmamk_f32 v28, v19, 0x3f5db3d7, v21
	v_lshlrev_b32_sdwa v26, v81, v26 dst_sel:DWORD dst_unused:UNUSED_PAD src0_sel:DWORD src1_sel:WORD_0
	v_fmac_f32_e32 v21, 0xbf5db3d7, v19
	v_fma_f32 v27, -0.5, v12, v146
	v_fmac_f32_e32 v120, -0.5, v22
	v_add_f32_e32 v22, v2, v9
	v_sub_f32_e32 v9, v9, v14
	v_fmac_f32_e32 v2, -0.5, v24
	v_fmamk_f32 v29, v16, 0xbf5db3d7, v27
	v_fmac_f32_e32 v27, 0x3f5db3d7, v16
	v_add_f32_e32 v14, v22, v14
	v_sub_f32_e32 v22, v8, v13
	v_fmamk_f32 v8, v9, 0xbf5db3d7, v120
	v_fmac_f32_e32 v120, 0x3f5db3d7, v9
	buffer_store_dword v26, off, s[20:23], 0 offset:440 ; 4-byte Folded Spill
	v_add_f32_e32 v7, v20, v14
	v_fmamk_f32 v13, v22, 0x3f5db3d7, v2
	v_mul_f32_e32 v24, 0x3f5db3d7, v8
	v_fmac_f32_e32 v2, 0xbf5db3d7, v22
	v_mul_f32_e32 v25, 0xbf5db3d7, v13
	v_fmac_f32_e32 v24, 0.5, v13
	v_mul_f32_e32 v9, -0.5, v2
	v_fmac_f32_e32 v25, 0.5, v8
	v_add_f32_e32 v8, v15, v23
	v_add_f32_e32 v12, v28, v24
	v_fmac_f32_e32 v9, 0x3f5db3d7, v120
	v_add_f32_e32 v13, v29, v25
	ds_write2_b64 v26, v[7:8], v[12:13] offset1:90
	v_sub_f32_e32 v7, v20, v14
	v_mul_f32_e32 v14, -0.5, v120
	v_sub_f32_e32 v8, v15, v23
	v_add_f32_e32 v12, v21, v9
	v_mov_b32_e32 v20, v0
	v_fmac_f32_e32 v14, 0xbf5db3d7, v2
	v_add_nc_u32_e32 v2, 0x400, v26
	buffer_store_dword v20, off, s[20:23], 0 offset:444 ; 4-byte Folded Spill
	v_add_f32_e32 v13, v27, v14
	buffer_store_dword v2, off, s[20:23], 0 offset:404 ; 4-byte Folded Spill
	ds_write2_b64 v2, v[12:13], v[7:8] offset0:52 offset1:142
	v_sub_f32_e32 v7, v28, v24
	v_sub_f32_e32 v8, v29, v25
	;; [unrolled: 1-line block ×4, first 2 shown]
	v_add_nc_u32_e32 v2, 0x800, v26
	v_mad_u64_u32 v[21:22], null, v51, 40, s[10:11]
	buffer_store_dword v2, off, s[20:23], 0 offset:408 ; 4-byte Folded Spill
	ds_write2_b64 v2, v[7:8], v[12:13] offset0:104 offset1:194
	v_add_f32_e32 v2, v148, v140
	v_add_f32_e32 v7, v140, v6
	v_sub_f32_e32 v12, v122, v5
	v_add_f32_e32 v13, v11, v18
	v_sub_f32_e32 v8, v140, v6
	v_add_f32_e32 v9, v2, v6
	v_add_f32_e32 v2, v147, v122
	v_fmac_f32_e32 v148, -0.5, v7
	v_add_f32_e32 v6, v4, v10
	v_add_f32_e32 v7, v2, v5
	;; [unrolled: 1-line block ×4, first 2 shown]
	v_sub_f32_e32 v10, v10, v17
	v_fmamk_f32 v19, v12, 0xbf5db3d7, v148
	v_fmac_f32_e32 v148, 0x3f5db3d7, v12
	v_fmac_f32_e32 v4, -0.5, v5
	v_add_f32_e32 v5, v121, v11
	v_sub_f32_e32 v11, v11, v18
	v_fmac_f32_e32 v121, -0.5, v13
	v_add_f32_e32 v13, v6, v17
	v_fma_f32 v17, -0.5, v2, v147
	v_add_f32_e32 v14, v5, v18
	v_fmamk_f32 v5, v11, 0xbf5db3d7, v4
	v_fmamk_f32 v6, v10, 0x3f5db3d7, v121
	v_add_f32_e32 v3, v9, v13
	v_fmamk_f32 v18, v8, 0x3f5db3d7, v17
	v_add_f32_e32 v2, v7, v14
	v_mul_f32_e32 v15, 0x3f5db3d7, v5
	v_mul_f32_e32 v16, 0xbf5db3d7, v6
	v_fmac_f32_e32 v121, 0xbf5db3d7, v10
	v_fmac_f32_e32 v4, 0x3f5db3d7, v11
	;; [unrolled: 1-line block ×3, first 2 shown]
	v_fmac_f32_e32 v15, 0.5, v6
	v_fmac_f32_e32 v16, 0.5, v5
	v_sub_f32_e32 v10, v118, v137
	v_add_f32_e32 v5, v18, v15
	v_add_f32_e32 v6, v19, v16
	ds_write2_b64 v0, v[2:3], v[5:6] offset1:90
	v_mul_f32_e32 v0, -0.5, v121
	v_mul_f32_e32 v6, -0.5, v4
	v_sub_f32_e32 v2, v7, v14
	v_sub_f32_e32 v3, v9, v13
	v_add_nc_u32_e32 v7, 0x400, v20
	v_fmac_f32_e32 v0, 0x3f5db3d7, v4
	v_fmac_f32_e32 v6, 0xbf5db3d7, v121
	v_sub_f32_e32 v9, v119, v138
	buffer_store_dword v7, off, s[20:23], 0 offset:412 ; 4-byte Folded Spill
	v_add_f32_e32 v4, v17, v0
	v_add_f32_e32 v5, v148, v6
	ds_write2_b64 v7, v[4:5], v[2:3] offset0:52 offset1:142
	v_sub_f32_e32 v3, v148, v6
	v_sub_f32_e32 v2, v17, v0
	;; [unrolled: 1-line block ×4, first 2 shown]
	v_add_nc_u32_e32 v0, 0x800, v20
	v_sub_f32_e32 v7, v117, v123
	buffer_store_dword v0, off, s[20:23], 0 offset:416 ; 4-byte Folded Spill
	ds_write2_b64 v0, v[4:5], v[2:3] offset0:104 offset1:194
	v_add_f32_e32 v0, v57, v1
	v_add_f32_e32 v2, v1, v139
	v_sub_f32_e32 v4, v1, v139
	v_add_f32_e32 v1, v118, v137
	v_add_f32_e32 v5, v0, v139
	v_fmac_f32_e32 v57, -0.5, v2
	v_add_f32_e32 v2, v94, v118
	v_fmac_f32_e32 v94, -0.5, v1
	v_add_f32_e32 v1, v93, v119
	v_add_f32_e32 v0, v56, v117
	v_fmamk_f32 v16, v7, 0xbf5db3d7, v57
	v_add_f32_e32 v11, v2, v137
	v_fmamk_f32 v2, v9, 0xbf5db3d7, v94
	v_add_f32_e32 v8, v1, v138
	v_add_f32_e32 v1, v119, v138
	;; [unrolled: 1-line block ×4, first 2 shown]
	v_mul_f32_e32 v12, 0x3f5db3d7, v2
	v_fmac_f32_e32 v94, 0x3f5db3d7, v9
	v_fmac_f32_e32 v93, -0.5, v1
	v_mad_u16 v1, 0x21c, v95, v116
	v_fma_f32 v14, -0.5, v0, v56
	v_add_f32_e32 v0, v6, v8
	v_fmac_f32_e32 v57, 0x3f5db3d7, v7
	v_fmamk_f32 v3, v10, 0x3f5db3d7, v93
	v_lshlrev_b32_sdwa v17, v81, v1 dst_sel:DWORD dst_unused:UNUSED_PAD src0_sel:DWORD src1_sel:WORD_0
	v_fmamk_f32 v15, v4, 0x3f5db3d7, v14
	v_add_f32_e32 v1, v5, v11
	v_fmac_f32_e32 v93, 0xbf5db3d7, v10
	v_mul_f32_e32 v13, 0xbf5db3d7, v3
	v_fmac_f32_e32 v12, 0.5, v3
	v_fmac_f32_e32 v14, 0xbf5db3d7, v4
	buffer_store_dword v17, off, s[20:23], 0 offset:448 ; 4-byte Folded Spill
	v_mul_f32_e32 v4, -0.5, v93
	v_fmac_f32_e32 v13, 0.5, v2
	v_add_f32_e32 v2, v15, v12
	v_fmac_f32_e32 v4, 0x3f5db3d7, v94
	v_add_f32_e32 v3, v16, v13
	ds_write2_b64 v17, v[0:1], v[2:3] offset1:90
	v_sub_f32_e32 v1, v5, v11
	v_mul_f32_e32 v5, -0.5, v94
	v_sub_f32_e32 v0, v6, v8
	v_add_f32_e32 v2, v14, v4
	v_add_nc_u32_e32 v6, 0x400, v17
	v_fmac_f32_e32 v5, 0xbf5db3d7, v93
	buffer_store_dword v6, off, s[20:23], 0 offset:420 ; 4-byte Folded Spill
	v_add_f32_e32 v3, v57, v5
	ds_write2_b64 v6, v[2:3], v[0:1] offset0:52 offset1:142
	v_sub_f32_e32 v1, v57, v5
	v_sub_f32_e32 v0, v14, v4
	;; [unrolled: 1-line block ×4, first 2 shown]
	v_add_nc_u32_e32 v4, 0x800, v17
	v_mov_b32_e32 v57, v52
	ds_write2_b64 v4, v[2:3], v[0:1] offset0:104 offset1:194
	v_add_co_u32 v0, vcc_lo, 0x1000, v21
	v_add_co_ci_u32_e32 v1, vcc_lo, 0, v22, vcc_lo
	buffer_store_dword v4, off, s[20:23], 0 offset:424 ; 4-byte Folded Spill
	s_waitcnt lgkmcnt(0)
	s_waitcnt_vscnt null, 0x0
	s_barrier
	buffer_gl0_inv
	global_load_dwordx4 v[245:248], v[0:1], off offset:200
	v_add_co_u32 v4, vcc_lo, 0x21a8, v21
	v_add_co_ci_u32_e32 v5, vcc_lo, 0, v22, vcc_lo
	v_mov_b32_e32 v127, v57
	global_load_dwordx4 v[176:179], v[4:5], off offset:16
	ds_read2_b64 v[0:3], v52 offset0:56 offset1:164
	s_waitcnt vmcnt(1) lgkmcnt(0)
	v_mul_f32_e32 v6, v1, v248
	v_mul_f32_e32 v16, v0, v248
	v_fma_f32 v15, v0, v247, -v6
	v_add_co_u32 v6, vcc_lo, 0x2000, v21
	v_add_co_ci_u32_e32 v7, vcc_lo, 0, v22, vcc_lo
	s_clause 0x1
	global_load_dwordx2 v[12:13], v[4:5], off offset:32
	global_load_dwordx4 v[92:95], v[6:7], off offset:424
	v_fmac_f32_e32 v16, v1, v247
	s_waitcnt vmcnt(0)
	v_mul_f32_e32 v0, v3, v95
	v_mul_f32_e32 v9, v2, v95
	v_fma_f32 v36, v2, v94, -v0
	v_add_co_u32 v0, vcc_lo, 0x10c8, v21
	v_add_co_ci_u32_e32 v1, vcc_lo, 0, v22, vcc_lo
	s_clause 0x1
	global_load_dwordx2 v[30:31], v[0:1], off offset:32
	global_load_dwordx4 v[120:123], v[0:1], off offset:16
	v_fmac_f32_e32 v9, v3, v94
	ds_read2_b64 v[0:3], v60 offset0:112 offset1:220
	s_waitcnt lgkmcnt(0)
	v_mul_f32_e32 v41, v2, v179
	v_fmac_f32_e32 v41, v3, v178
	s_waitcnt vmcnt(0)
	v_mul_f32_e32 v4, v1, v123
	v_mul_f32_e32 v23, v0, v123
	v_fma_f32 v20, v0, v122, -v4
	v_mul_f32_e32 v0, v3, v179
	v_fmac_f32_e32 v23, v1, v122
	v_fma_f32 v40, v2, v178, -v0
	ds_read2_b64 v[0:3], v231 offset0:136 offset1:244
	s_waitcnt lgkmcnt(0)
	v_mul_f32_e32 v4, v1, v93
	v_mul_f32_e32 v42, v0, v93
	v_fma_f32 v26, v0, v92, -v4
	v_add_co_u32 v4, vcc_lo, 0x3000, v21
	v_add_co_ci_u32_e32 v5, vcc_lo, 0, v22, vcc_lo
	v_add_co_u32 v0, vcc_lo, 0x4368, v21
	v_fmac_f32_e32 v42, v1, v92
	v_add_co_ci_u32_e32 v1, vcc_lo, 0, v22, vcc_lo
	s_clause 0x1
	global_load_dwordx4 v[116:119], v[4:5], off offset:648
	global_load_dwordx4 v[140:143], v[0:1], off offset:16
	s_waitcnt vmcnt(1)
	v_mul_f32_e32 v4, v3, v117
	v_mul_f32_e32 v8, v2, v117
	v_fma_f32 v11, v2, v116, -v4
	v_fmac_f32_e32 v8, v3, v116
	ds_read2_b64 v[2:5], v167 offset0:64 offset1:172
	s_waitcnt lgkmcnt(0)
	v_mul_f32_e32 v6, v3, v177
	v_mul_f32_e32 v44, v2, v177
	v_fma_f32 v43, v2, v176, -v6
	v_add_co_u32 v6, vcc_lo, 0x3288, v21
	v_add_co_ci_u32_e32 v7, vcc_lo, 0, v22, vcc_lo
	s_clause 0x1
	global_load_dwordx2 v[253:254], v[6:7], off offset:32
	global_load_dwordx4 v[144:147], v[6:7], off offset:16
	v_fmac_f32_e32 v44, v3, v176
	s_waitcnt vmcnt(0)
	v_mul_f32_e32 v2, v5, v145
	v_mul_f32_e32 v46, v4, v145
	v_fma_f32 v45, v4, v144, -v2
	v_fmac_f32_e32 v46, v5, v144
	ds_read2_b64 v[2:5], v165 offset0:120 offset1:228
	buffer_store_dword v12, off, s[20:23], 0 offset:524 ; 4-byte Folded Spill
	buffer_store_dword v13, off, s[20:23], 0 offset:528 ; 4-byte Folded Spill
	s_waitcnt lgkmcnt(0)
	v_mul_f32_e32 v206, v4, v254
	v_fmac_f32_e32 v206, v5, v253
	v_mul_f32_e32 v6, v3, v13
	v_mul_f32_e32 v48, v2, v13
	v_fma_f32 v47, v2, v12, -v6
	v_mul_f32_e32 v2, v5, v254
	v_fmac_f32_e32 v48, v3, v12
	v_fma_f32 v37, v4, v253, -v2
	ds_read2_b64 v[4:7], v232 offset0:16 offset1:124
	s_waitcnt lgkmcnt(0)
	v_mul_f32_e32 v2, v5, v119
	v_mul_f32_e32 v33, v4, v119
	v_fma_f32 v27, v4, v118, -v2
	v_add_co_u32 v2, vcc_lo, 0x4000, v21
	v_add_co_ci_u32_e32 v3, vcc_lo, 0, v22, vcc_lo
	s_clause 0x1
	global_load_dwordx2 v[38:39], v[0:1], off offset:32
	global_load_dwordx4 v[136:139], v[2:3], off offset:872
	ds_read2_b64 v[148:151], v164 offset0:72 offset1:180
	ds_read2_b64 v[164:167], v166 offset0:96 offset1:204
	v_fmac_f32_e32 v33, v5, v118
	s_waitcnt lgkmcnt(1)
	v_mul_f32_e32 v50, v148, v147
	v_mul_f32_e32 v18, v150, v143
	v_fmac_f32_e32 v50, v149, v146
	v_fmac_f32_e32 v18, v151, v142
	s_waitcnt vmcnt(0)
	v_mul_f32_e32 v0, v7, v139
	s_waitcnt lgkmcnt(0)
	v_mul_f32_e32 v10, v164, v137
	v_mul_f32_e32 v19, v6, v139
	v_fma_f32 v17, v6, v138, -v0
	v_mul_f32_e32 v0, v149, v147
	v_fmac_f32_e32 v10, v165, v136
	v_fmac_f32_e32 v19, v7, v138
	v_fma_f32 v49, v148, v146, -v0
	v_mul_f32_e32 v0, v151, v143
	v_fma_f32 v35, v150, v142, -v0
	v_mul_f32_e32 v0, v165, v137
	v_fma_f32 v14, v164, v136, -v0
	v_add_co_u32 v0, vcc_lo, 0x5000, v21
	v_add_co_ci_u32_e32 v1, vcc_lo, 0, v22, vcc_lo
	global_load_dwordx4 v[148:151], v[0:1], off offset:1096
	s_waitcnt vmcnt(0)
	v_mul_f32_e32 v0, v167, v149
	v_mul_f32_e32 v5, v166, v149
	v_fma_f32 v4, v166, v148, -v0
	v_fmac_f32_e32 v5, v167, v148
	ds_read2_b64 v[164:167], v170 offset0:104 offset1:212
	s_waitcnt lgkmcnt(0)
	v_mul_f32_e32 v0, v167, v121
	v_mul_f32_e32 v29, v166, v121
	;; [unrolled: 1-line block ×3, first 2 shown]
	v_fma_f32 v28, v166, v120, -v0
	v_fmac_f32_e32 v29, v167, v120
	ds_read2_b64 v[166:169], v74 offset0:24 offset1:132
	v_mul_f32_e32 v0, v165, v151
	v_fmac_f32_e32 v12, v165, v150
	v_fma_f32 v34, v164, v150, -v0
	v_add_co_u32 v0, vcc_lo, 0x5448, v21
	v_add_co_ci_u32_e32 v1, vcc_lo, 0, v22, vcc_lo
	s_waitcnt lgkmcnt(0)
	v_mul_f32_e32 v2, v167, v141
	v_mul_f32_e32 v208, v166, v141
	v_fma_f32 v21, v166, v140, -v2
	v_fmac_f32_e32 v208, v167, v140
	s_clause 0x1
	global_load_dwordx2 v[239:240], v[0:1], off offset:32
	global_load_dwordx4 v[164:167], v[0:1], off offset:16
	v_mov_b32_e32 v1, v30
	v_mov_b32_e32 v2, v31
	s_waitcnt vmcnt(0)
	v_mul_f32_e32 v0, v169, v165
	v_mul_f32_e32 v7, v168, v165
	v_fma_f32 v25, v168, v164, -v0
	v_fmac_f32_e32 v7, v169, v164
	ds_read2_b64 v[168:171], v76 offset0:32 offset1:140
	buffer_store_dword v1, off, s[20:23], 0 offset:492 ; 4-byte Folded Spill
	buffer_store_dword v2, off, s[20:23], 0 offset:496 ; 4-byte Folded Spill
	s_waitcnt lgkmcnt(0)
	v_mul_f32_e32 v13, v168, v167
	v_fmac_f32_e32 v13, v169, v166
	v_mul_f32_e32 v0, v171, v2
	v_mul_f32_e32 v31, v170, v2
	v_fma_f32 v30, v170, v1, -v0
	v_mul_f32_e32 v0, v169, v167
	v_fmac_f32_e32 v31, v171, v1
	v_fma_f32 v24, v168, v166, -v0
	ds_read2_b64 v[168:171], v96 offset0:80 offset1:188
	buffer_store_dword v38, off, s[20:23], 0 offset:532 ; 4-byte Folded Spill
	buffer_store_dword v39, off, s[20:23], 0 offset:536 ; 4-byte Folded Spill
	s_waitcnt lgkmcnt(0)
	v_mul_f32_e32 v6, v170, v240
	v_fmac_f32_e32 v6, v171, v239
	v_mul_f32_e32 v0, v169, v39
	v_mul_f32_e32 v52, v168, v39
	v_fma_f32 v51, v168, v38, -v0
	v_mul_f32_e32 v0, v171, v240
	v_fmac_f32_e32 v52, v169, v38
	v_fma_f32 v22, v170, v239, -v0
	ds_read2_b64 v[168:171], v62 offset0:48 offset1:156
	s_waitcnt lgkmcnt(0)
	v_mul_f32_e32 v0, v171, v246
	v_mul_f32_e32 v54, v170, v246
	v_fma_f32 v53, v170, v245, -v0
	ds_read2_b64 v[0:3], v125 offset1:108
	v_fmac_f32_e32 v54, v171, v245
	s_waitcnt lgkmcnt(0)
	v_add_f32_e32 v38, v0, v15
	v_add_f32_e32 v55, v38, v20
	;; [unrolled: 1-line block ×9, first 2 shown]
	v_sub_f32_e32 v170, v55, v170
	v_sub_f32_e32 v55, v16, v23
	v_add_f32_e32 v16, v16, v23
	v_add_f32_e32 v23, v29, v31
	;; [unrolled: 1-line block ×3, first 2 shown]
	v_sub_f32_e32 v171, v171, v207
	v_fma_f32 v1, -0.5, v16, v1
	v_fmac_f32_e32 v54, -0.5, v23
	v_add_f32_e32 v23, v28, v30
	v_sub_f32_e32 v28, v28, v30
	v_add_f32_e32 v30, v15, v20
	v_sub_f32_e32 v20, v15, v20
	v_fmac_f32_e32 v53, -0.5, v23
	v_sub_f32_e32 v23, v29, v31
	v_fmamk_f32 v15, v28, 0xbf5db3d7, v54
	v_fmac_f32_e32 v54, 0x3f5db3d7, v28
	v_fma_f32 v0, -0.5, v30, v0
	v_fmamk_f32 v16, v20, 0xbf5db3d7, v1
	v_fmamk_f32 v29, v23, 0x3f5db3d7, v53
	v_mul_f32_e32 v207, 0x3f5db3d7, v15
	v_fmac_f32_e32 v53, 0xbf5db3d7, v23
	v_fmac_f32_e32 v1, 0x3f5db3d7, v20
	v_mul_f32_e32 v23, -0.5, v54
	v_fmac_f32_e32 v207, 0.5, v29
	v_mul_f32_e32 v29, 0xbf5db3d7, v29
	v_mul_f32_e32 v20, -0.5, v53
	v_fmac_f32_e32 v23, 0xbf5db3d7, v53
	v_fmac_f32_e32 v29, 0.5, v15
	v_fmamk_f32 v15, v55, 0x3f5db3d7, v0
	v_fmac_f32_e32 v0, 0xbf5db3d7, v55
	v_fmac_f32_e32 v20, 0x3f5db3d7, v54
	v_mov_b32_e32 v55, v80
	v_add_f32_e32 v31, v16, v29
	v_add_f32_e32 v30, v15, v207
	v_sub_f32_e32 v16, v16, v29
	v_add_f32_e32 v28, v0, v20
	v_add_f32_e32 v29, v1, v23
	v_sub_f32_e32 v15, v15, v207
	v_sub_f32_e32 v0, v0, v20
	;; [unrolled: 1-line block ×3, first 2 shown]
	ds_write_b64 v125, v[30:31] offset:4320
	ds_write_b64 v125, v[28:29] offset:8640
	ds_read2_b64 v[28:31], v80 offset0:88 offset1:196
	ds_write_b64 v125, v[170:171] offset:12960
	ds_write_b64 v125, v[15:16] offset:17280
	;; [unrolled: 1-line block ×3, first 2 shown]
	v_add_f32_e32 v0, v2, v36
	v_mov_b32_e32 v71, v55
	v_add_f32_e32 v20, v0, v40
	v_add_f32_e32 v0, v3, v9
	v_mov_b32_e32 v204, v71
	v_add_f32_e32 v23, v0, v41
	v_add_f32_e32 v0, v26, v43
	;; [unrolled: 1-line block ×7, first 2 shown]
	ds_write2_b64 v125, v[38:39], v[0:1] offset1:108
	v_add_f32_e32 v0, v9, v41
	v_sub_f32_e32 v38, v43, v47
	v_add_f32_e32 v1, v36, v40
	v_sub_f32_e32 v39, v44, v48
	v_sub_f32_e32 v9, v9, v41
	v_fmac_f32_e32 v3, -0.5, v0
	v_add_f32_e32 v0, v44, v48
	v_sub_f32_e32 v36, v36, v40
	v_fma_f32 v2, -0.5, v1, v2
	v_fmac_f32_e32 v42, -0.5, v0
	v_add_f32_e32 v0, v43, v47
	v_fmamk_f32 v41, v36, 0xbf5db3d7, v3
	v_fmac_f32_e32 v3, 0x3f5db3d7, v36
	v_fmac_f32_e32 v26, -0.5, v0
	v_fmamk_f32 v0, v38, 0xbf5db3d7, v42
	v_fmac_f32_e32 v42, 0x3f5db3d7, v38
	v_fmamk_f32 v15, v39, 0x3f5db3d7, v26
	v_mul_f32_e32 v16, 0x3f5db3d7, v0
	v_fmac_f32_e32 v26, 0xbf5db3d7, v39
	v_mul_f32_e32 v36, -0.5, v42
	v_mul_f32_e32 v40, 0xbf5db3d7, v15
	v_fmac_f32_e32 v16, 0.5, v15
	v_fmamk_f32 v15, v9, 0x3f5db3d7, v2
	v_fmac_f32_e32 v2, 0xbf5db3d7, v9
	v_mul_f32_e32 v9, -0.5, v26
	v_fmac_f32_e32 v36, 0xbf5db3d7, v26
	v_fmac_f32_e32 v40, 0.5, v0
	v_add_f32_e32 v0, v15, v16
	v_sub_f32_e32 v15, v15, v16
	v_fmac_f32_e32 v9, 0x3f5db3d7, v42
	v_add_f32_e32 v39, v3, v36
	v_sub_f32_e32 v16, v41, v40
	v_add_f32_e32 v1, v41, v40
	v_add_f32_e32 v26, v11, v45
	;; [unrolled: 1-line block ×3, first 2 shown]
	ds_write_b64 v125, v[38:39] offset:9504
	ds_write_b64 v125, v[15:16] offset:18144
	v_add_f32_e32 v15, v45, v37
	v_sub_f32_e32 v40, v46, v206
	v_add_f32_e32 v38, v8, v46
	v_sub_f32_e32 v39, v45, v37
	v_sub_f32_e32 v45, v33, v50
	v_fmac_f32_e32 v11, -0.5, v15
	v_add_f32_e32 v15, v46, v206
	v_sub_f32_e32 v46, v27, v49
	v_add_f32_e32 v26, v26, v37
	v_fmamk_f32 v16, v40, 0x3f5db3d7, v11
	v_fmac_f32_e32 v8, -0.5, v15
	v_fmac_f32_e32 v11, 0xbf5db3d7, v40
	v_mul_f32_e32 v42, 0xbf5db3d7, v16
	v_fmamk_f32 v15, v39, 0xbf5db3d7, v8
	v_fmac_f32_e32 v8, 0x3f5db3d7, v39
	v_mul_f32_e32 v41, 0x3f5db3d7, v15
	v_fmac_f32_e32 v42, 0.5, v15
	v_add_f32_e32 v15, v27, v49
	v_fmac_f32_e32 v41, 0.5, v16
	s_waitcnt lgkmcnt(6)
	v_fma_f32 v43, -0.5, v15, v28
	v_add_f32_e32 v15, v33, v50
	v_fmamk_f32 v47, v45, 0x3f5db3d7, v43
	v_fma_f32 v44, -0.5, v15, v29
	v_fmac_f32_e32 v43, 0xbf5db3d7, v45
	v_add_f32_e32 v15, v47, v41
	v_fmamk_f32 v48, v46, 0xbf5db3d7, v44
	v_fmac_f32_e32 v44, 0x3f5db3d7, v46
	v_add_f32_e32 v16, v48, v42
	ds_write2_b64 v231, v[0:1], v[15:16] offset0:136 offset1:244
	v_add_f32_e32 v15, v28, v27
	v_sub_f32_e32 v0, v20, v53
	v_sub_f32_e32 v1, v23, v54
	v_add_f32_e32 v27, v38, v206
	v_add_f32_e32 v20, v15, v49
	;; [unrolled: 1-line block ×4, first 2 shown]
	v_sub_f32_e32 v15, v20, v26
	v_sub_f32_e32 v16, v23, v27
	ds_write2_b64 v59, v[0:1], v[15:16] offset0:64 offset1:172
	v_sub_f32_e32 v0, v2, v9
	v_mul_f32_e32 v9, -0.5, v11
	v_sub_f32_e32 v1, v3, v36
	v_fmac_f32_e32 v9, 0x3f5db3d7, v8
	v_mul_f32_e32 v8, -0.5, v8
	v_sub_f32_e32 v2, v43, v9
	v_fmac_f32_e32 v8, 0xbf5db3d7, v11
	v_sub_f32_e32 v3, v44, v8
	ds_write2_b64 v75, v[0:1], v[2:3] offset0:120 offset1:228
	v_add_f32_e32 v2, v30, v17
	v_add_f32_e32 v0, v20, v26
	;; [unrolled: 1-line block ×12, first 2 shown]
	ds_write2_b64 v80, v[0:1], v[2:3] offset0:88 offset1:196
	v_add_f32_e32 v2, v17, v35
	v_add_f32_e32 v1, v44, v8
	;; [unrolled: 1-line block ×4, first 2 shown]
	v_mov_b32_e32 v80, v63
	v_fma_f32 v8, -0.5, v2, v30
	v_sub_f32_e32 v2, v19, v18
	v_fmac_f32_e32 v14, -0.5, v3
	v_add_f32_e32 v3, v208, v52
	v_fmamk_f32 v9, v2, 0x3f5db3d7, v8
	v_fmac_f32_e32 v8, 0xbf5db3d7, v2
	v_add_f32_e32 v2, v19, v18
	v_sub_f32_e32 v18, v208, v52
	v_fmac_f32_e32 v10, -0.5, v3
	v_sub_f32_e32 v3, v21, v51
	v_fmac_f32_e32 v31, -0.5, v2
	v_sub_f32_e32 v2, v17, v35
	v_fmamk_f32 v17, v18, 0x3f5db3d7, v14
	v_fmac_f32_e32 v14, 0xbf5db3d7, v18
	v_fmamk_f32 v19, v3, 0xbf5db3d7, v10
	v_fmac_f32_e32 v10, 0x3f5db3d7, v3
	;; [unrolled: 2-line block ×3, first 2 shown]
	v_mul_f32_e32 v21, -0.5, v14
	v_fmac_f32_e32 v21, 0x3f5db3d7, v10
	v_mul_f32_e32 v10, -0.5, v10
	v_add_f32_e32 v2, v8, v21
	v_fmac_f32_e32 v10, 0xbf5db3d7, v14
	v_mul_f32_e32 v14, 0xbf5db3d7, v17
	v_add_f32_e32 v3, v31, v10
	v_fmac_f32_e32 v14, 0.5, v19
	ds_write2_b64 v232, v[0:1], v[2:3] offset0:16 offset1:124
	v_sub_f32_e32 v0, v11, v16
	v_mul_f32_e32 v11, 0x3f5db3d7, v19
	v_sub_f32_e32 v1, v15, v20
	v_sub_f32_e32 v2, v47, v41
	;; [unrolled: 1-line block ×3, first 2 shown]
	v_fmac_f32_e32 v11, 0.5, v17
	ds_write_b64 v125, v[0:1] offset:15552
	v_sub_f32_e32 v1, v18, v14
	v_sub_f32_e32 v0, v9, v11
	ds_write2_b64 v63, v[2:3], v[0:1] offset0:72 offset1:180
	v_sub_f32_e32 v1, v31, v10
	v_sub_f32_e32 v0, v8, v21
	v_add_f32_e32 v2, v9, v11
	v_add_f32_e32 v3, v18, v14
	v_sub_f32_e32 v14, v34, v24
	ds_write_b64 v125, v[0:1] offset:24192
	v_add_f32_e32 v0, v168, v34
	v_add_f32_e32 v8, v0, v24
	;; [unrolled: 1-line block ×10, first 2 shown]
	ds_write_b64 v125, v[0:1] offset:3456
	v_add_f32_e32 v0, v12, v13
	v_sub_f32_e32 v12, v12, v13
	v_sub_f32_e32 v13, v25, v22
	v_add_f32_e32 v1, v34, v24
	v_fmac_f32_e32 v169, -0.5, v0
	v_add_f32_e32 v0, v7, v6
	v_sub_f32_e32 v6, v7, v6
	v_fma_f32 v17, -0.5, v1, v168
	v_fmamk_f32 v19, v14, 0xbf5db3d7, v169
	v_fmac_f32_e32 v5, -0.5, v0
	v_add_f32_e32 v0, v25, v22
	v_fmamk_f32 v18, v12, 0x3f5db3d7, v17
	v_fmac_f32_e32 v169, 0x3f5db3d7, v14
	v_fmac_f32_e32 v17, 0xbf5db3d7, v12
	v_fmac_f32_e32 v4, -0.5, v0
	v_fmamk_f32 v0, v13, 0xbf5db3d7, v5
	v_fmac_f32_e32 v5, 0x3f5db3d7, v13
	v_fmamk_f32 v7, v6, 0x3f5db3d7, v4
	v_mul_f32_e32 v15, 0x3f5db3d7, v0
	v_fmac_f32_e32 v4, 0xbf5db3d7, v6
	v_sub_f32_e32 v6, v8, v10
	v_mul_f32_e32 v16, 0xbf5db3d7, v7
	v_fmac_f32_e32 v15, 0.5, v7
	v_sub_f32_e32 v7, v9, v11
	v_fmac_f32_e32 v16, 0.5, v0
	v_add_f32_e32 v0, v18, v15
	v_sub_f32_e32 v8, v18, v15
	v_add_f32_e32 v1, v19, v16
	v_sub_f32_e32 v9, v19, v16
	ds_write2_b64 v78, v[2:3], v[0:1] offset0:96 offset1:204
	v_mul_f32_e32 v0, -0.5, v5
	v_mul_f32_e32 v2, -0.5, v4
	v_fmac_f32_e32 v0, 0xbf5db3d7, v4
	v_fmac_f32_e32 v2, 0x3f5db3d7, v5
	v_add_f32_e32 v1, v169, v0
	v_sub_f32_e32 v3, v169, v0
	v_add_f32_e32 v0, v17, v2
	v_sub_f32_e32 v2, v17, v2
	ds_write_b64 v125, v[0:1] offset:12096
	ds_write_b64 v125, v[6:7] offset:16416
	ds_write_b64 v125, v[8:9] offset:20736
	ds_write_b64 v125, v[2:3] offset:25056
	v_add_co_u32 v0, vcc_lo, 0x6540, v32
	s_waitcnt lgkmcnt(0)
	s_waitcnt_vscnt null, 0x0
	s_barrier
	buffer_gl0_inv
	global_load_dwordx2 v[168:169], v[233:234], off offset:1344
	v_add_co_ci_u32_e32 v1, vcc_lo, 0, v64, vcc_lo
	v_add_co_u32 v4, vcc_lo, 0x8000, v32
	v_add_co_ci_u32_e32 v5, vcc_lo, 0, v64, vcc_lo
	s_clause 0x2
	global_load_dwordx2 v[6:7], v[0:1], off offset:864
	global_load_dwordx2 v[8:9], v[0:1], off offset:1728
	;; [unrolled: 1-line block ×3, first 2 shown]
	ds_read2_b64 v[0:3], v125 offset1:108
	s_waitcnt vmcnt(3) lgkmcnt(0)
	v_mul_f32_e32 v10, v1, v169
	v_mul_f32_e32 v13, v0, v169
	v_fma_f32 v12, v0, v168, -v10
	s_waitcnt vmcnt(2)
	v_mul_f32_e32 v0, v3, v7
	v_mul_f32_e32 v54, v2, v7
	v_fmac_f32_e32 v13, v1, v168
	v_fma_f32 v53, v2, v6, -v0
	v_fmac_f32_e32 v54, v3, v6
	v_add_co_u32 v6, vcc_lo, 0xa800, v32
	v_add_co_ci_u32_e32 v7, vcc_lo, 0, v64, vcc_lo
	ds_write_b64 v125, v[12:13]
	s_clause 0x3
	global_load_dwordx2 v[12:13], v[4:5], off offset:1792
	global_load_dwordx2 v[16:17], v[6:7], off offset:192
	;; [unrolled: 1-line block ×4, first 2 shown]
	ds_read2_b64 v[0:3], v57 offset0:56 offset1:164
	s_waitcnt vmcnt(3) lgkmcnt(0)
	v_mul_f32_e32 v4, v1, v13
	v_mul_f32_e32 v207, v0, v13
	v_fma_f32 v206, v0, v12, -v4
	v_add_co_u32 v0, vcc_lo, 0x8800, v32
	v_fmac_f32_e32 v207, v1, v12
	v_add_co_ci_u32_e32 v1, vcc_lo, 0, v64, vcc_lo
	s_clause 0x2
	global_load_dwordx2 v[12:13], v[0:1], off offset:608
	global_load_dwordx2 v[24:25], v[0:1], off offset:1472
	;; [unrolled: 1-line block ×3, first 2 shown]
	s_waitcnt vmcnt(2)
	v_mul_f32_e32 v0, v3, v13
	v_mul_f32_e32 v48, v2, v13
	v_fma_f32 v47, v2, v12, -v0
	v_fmac_f32_e32 v48, v3, v12
	ds_read2_b64 v[0:3], v60 offset0:112 offset1:220
	s_waitcnt lgkmcnt(0)
	v_mul_f32_e32 v4, v1, v17
	v_mul_f32_e32 v52, v0, v17
	;; [unrolled: 1-line block ×3, first 2 shown]
	v_fma_f32 v51, v0, v16, -v4
	v_mul_f32_e32 v0, v3, v19
	v_fmac_f32_e32 v52, v1, v16
	v_fmac_f32_e32 v42, v3, v18
	v_fma_f32 v41, v2, v18, -v0
	ds_read2_b64 v[0:3], v55 offset0:88 offset1:196
	v_mov_b32_e32 v55, v231
	s_waitcnt lgkmcnt(0)
	v_mul_f32_e32 v4, v1, v9
	v_mul_f32_e32 v44, v0, v9
	v_fma_f32 v43, v0, v8, -v4
	v_add_co_u32 v0, vcc_lo, 0x6800, v32
	v_fmac_f32_e32 v44, v1, v8
	v_add_co_ci_u32_e32 v1, vcc_lo, 0, v64, vcc_lo
	global_load_dwordx2 v[0:1], v[0:1], off offset:1888
	s_waitcnt vmcnt(0)
	v_mul_f32_e32 v4, v3, v1
	v_mul_f32_e32 v40, v2, v1
	v_fma_f32 v39, v2, v0, -v4
	v_fmac_f32_e32 v40, v3, v0
	ds_read2_b64 v[0:3], v232 offset0:16 offset1:124
	s_waitcnt lgkmcnt(0)
	v_mul_f32_e32 v4, v1, v25
	v_mul_f32_e32 v29, v0, v25
	v_fma_f32 v28, v0, v24, -v4
	v_add_co_u32 v0, vcc_lo, 0x9000, v32
	v_fmac_f32_e32 v29, v1, v24
	v_add_co_ci_u32_e32 v1, vcc_lo, 0, v64, vcc_lo
	s_clause 0x2
	global_load_dwordx2 v[24:25], v[0:1], off offset:288
	global_load_dwordx2 v[30:31], v[0:1], off offset:1152
	;; [unrolled: 1-line block ×3, first 2 shown]
	s_waitcnt vmcnt(2)
	v_mul_f32_e32 v0, v3, v25
	v_mul_f32_e32 v36, v2, v25
	v_fma_f32 v35, v2, v24, -v0
	v_fmac_f32_e32 v36, v3, v24
	ds_read2_b64 v[0:3], v63 offset0:72 offset1:180
	s_waitcnt lgkmcnt(0)
	v_mul_f32_e32 v4, v1, v7
	v_mul_f32_e32 v27, v0, v7
	v_fma_f32 v26, v0, v6, -v4
	v_add_co_u32 v0, vcc_lo, 0xb000, v32
	v_fmac_f32_e32 v27, v1, v6
	v_add_co_ci_u32_e32 v1, vcc_lo, 0, v64, vcc_lo
	global_load_dwordx2 v[6:7], v[0:1], off offset:736
	s_waitcnt vmcnt(0)
	v_mul_f32_e32 v4, v3, v7
	v_mul_f32_e32 v38, v2, v7
	v_fma_f32 v37, v2, v6, -v4
	v_add_co_u32 v2, vcc_lo, 0x7000, v32
	v_fmac_f32_e32 v38, v3, v6
	v_add_co_ci_u32_e32 v3, vcc_lo, 0, v64, vcc_lo
	s_clause 0x1
	global_load_dwordx2 v[6:7], v[2:3], off offset:704
	global_load_dwordx2 v[168:169], v[2:3], off offset:1568
	v_add_co_u32 v170, vcc_lo, 0xb800, v32
	v_add_co_ci_u32_e32 v171, vcc_lo, 0, v64, vcc_lo
	s_clause 0x1
	global_load_dwordx2 v[233:234], v[170:171], off offset:416
	global_load_dwordx2 v[4:5], v[0:1], off offset:1600
	ds_read2_b64 v[0:3], v62 offset0:48 offset1:156
	s_waitcnt vmcnt(3) lgkmcnt(0)
	v_mul_f32_e32 v8, v1, v7
	v_mul_f32_e32 v23, v0, v7
	s_waitcnt vmcnt(2)
	v_mul_f32_e32 v25, v2, v169
	v_fma_f32 v22, v0, v6, -v8
	v_mul_f32_e32 v0, v3, v169
	v_fmac_f32_e32 v23, v1, v6
	v_fmac_f32_e32 v25, v3, v168
	v_fma_f32 v24, v2, v168, -v0
	ds_read2_b64 v[0:3], v61 offset0:104 offset1:212
	s_waitcnt lgkmcnt(0)
	v_mul_f32_e32 v6, v1, v31
	v_mul_f32_e32 v169, v0, v31
	;; [unrolled: 1-line block ×3, first 2 shown]
	v_fma_f32 v168, v0, v30, -v6
	v_mul_f32_e32 v0, v3, v34
	v_fmac_f32_e32 v169, v1, v30
	v_fmac_f32_e32 v31, v3, v33
	v_fma_f32 v30, v2, v33, -v0
	ds_read2_b64 v[0:3], v76 offset0:32 offset1:140
	s_waitcnt vmcnt(0) lgkmcnt(0)
	v_mul_f32_e32 v6, v1, v5
	v_mul_f32_e32 v34, v0, v5
	;; [unrolled: 1-line block ×3, first 2 shown]
	v_fma_f32 v33, v0, v4, -v6
	v_mul_f32_e32 v0, v3, v234
	v_fmac_f32_e32 v34, v1, v4
	v_fmac_f32_e32 v21, v3, v233
	v_fma_f32 v20, v2, v233, -v0
	v_add_co_u32 v0, vcc_lo, 0x7800, v32
	v_add_co_ci_u32_e32 v1, vcc_lo, 0, v64, vcc_lo
	s_clause 0x1
	global_load_dwordx2 v[233:234], v[0:1], off offset:384
	global_load_dwordx2 v[4:5], v[0:1], off offset:1248
	v_add_co_u32 v8, vcc_lo, 0x9800, v32
	v_add_co_ci_u32_e32 v9, vcc_lo, 0, v64, vcc_lo
	s_clause 0x1
	global_load_dwordx2 v[6:7], v[8:9], off offset:832
	global_load_dwordx2 v[170:171], v[170:171], off offset:1280
	ds_read2_b64 v[0:3], v231 offset0:136 offset1:244
	s_waitcnt vmcnt(3) lgkmcnt(0)
	v_mul_f32_e32 v10, v1, v234
	v_mul_f32_e32 v232, v0, v234
	s_waitcnt vmcnt(2)
	v_mul_f32_e32 v234, v2, v5
	v_fma_f32 v231, v0, v233, -v10
	v_mul_f32_e32 v0, v3, v5
	v_fmac_f32_e32 v232, v1, v233
	v_fmac_f32_e32 v234, v3, v4
	v_fma_f32 v233, v2, v4, -v0
	ds_read2_b64 v[0:3], v59 offset0:64 offset1:172
	s_waitcnt vmcnt(1) lgkmcnt(0)
	v_mul_f32_e32 v4, v1, v7
	v_mul_f32_e32 v19, v0, v7
	v_fma_f32 v18, v0, v6, -v4
	v_fmac_f32_e32 v19, v1, v6
	global_load_dwordx2 v[0:1], v[8:9], off offset:1696
	v_add_co_u32 v6, vcc_lo, 0xc000, v32
	v_add_co_ci_u32_e32 v7, vcc_lo, 0, v64, vcc_lo
	s_clause 0x2
	global_load_dwordx2 v[8:9], v[6:7], off offset:96
	global_load_dwordx2 v[16:17], v[6:7], off offset:960
	;; [unrolled: 1-line block ×3, first 2 shown]
	s_waitcnt vmcnt(3)
	v_mul_f32_e32 v4, v3, v1
	v_mul_f32_e32 v11, v2, v1
	v_fma_f32 v10, v2, v0, -v4
	v_fmac_f32_e32 v11, v3, v0
	ds_read2_b64 v[0:3], v75 offset0:120 offset1:228
	s_waitcnt lgkmcnt(0)
	v_mul_f32_e32 v4, v1, v171
	v_mul_f32_e32 v13, v0, v171
	s_waitcnt vmcnt(2)
	v_mul_f32_e32 v171, v2, v9
	v_fma_f32 v12, v0, v170, -v4
	v_mul_f32_e32 v0, v3, v9
	v_fmac_f32_e32 v13, v1, v170
	v_fmac_f32_e32 v171, v3, v8
	v_fma_f32 v170, v2, v8, -v0
	ds_read2_b64 v[0:3], v78 offset0:96 offset1:204
	s_waitcnt lgkmcnt(0)
	v_mul_f32_e32 v4, v1, v50
	v_mul_f32_e32 v9, v0, v50
	;; [unrolled: 1-line block ×3, first 2 shown]
	v_fma_f32 v8, v0, v49, -v4
	v_mul_f32_e32 v0, v3, v46
	v_fmac_f32_e32 v9, v1, v49
	v_fmac_f32_e32 v50, v3, v45
	v_fma_f32 v49, v2, v45, -v0
	v_add_co_u32 v0, vcc_lo, 0xa000, v32
	v_add_co_ci_u32_e32 v1, vcc_lo, 0, v64, vcc_lo
	s_clause 0x1
	global_load_dwordx2 v[45:46], v[0:1], off offset:512
	global_load_dwordx2 v[4:5], v[0:1], off offset:1376
	ds_read2_b64 v[0:3], v74 offset0:24 offset1:132
	s_waitcnt vmcnt(1) lgkmcnt(0)
	v_mul_f32_e32 v6, v1, v46
	v_mul_f32_e32 v7, v0, v46
	s_waitcnt vmcnt(0)
	v_mul_f32_e32 v46, v2, v5
	v_fma_f32 v6, v0, v45, -v6
	v_mul_f32_e32 v0, v3, v5
	v_fmac_f32_e32 v7, v1, v45
	v_fmac_f32_e32 v46, v3, v4
	v_fma_f32 v45, v2, v4, -v0
	ds_read2_b64 v[0:3], v96 offset0:80 offset1:188
	s_waitcnt lgkmcnt(0)
	v_mul_f32_e32 v4, v1, v17
	v_mul_f32_e32 v5, v0, v17
	v_fma_f32 v4, v0, v16, -v4
	v_mul_f32_e32 v0, v3, v15
	v_fmac_f32_e32 v5, v1, v16
	v_mul_f32_e32 v1, v2, v15
	v_fma_f32 v0, v2, v14, -v0
	v_add_nc_u32_e32 v2, 0x2400, v125
	v_fmac_f32_e32 v1, v3, v14
	ds_write2_b64 v2, v[47:48], v[28:29] offset0:36 offset1:144
	v_add_nc_u32_e32 v2, 0x4400, v125
	ds_write2_b64 v2, v[41:42], v[26:27] offset0:92 offset1:200
	v_add_nc_u32_e32 v2, 0x800, v125
	;; [unrolled: 2-line block ×3, first 2 shown]
	v_mov_b32_e32 v22, v55
	ds_write2_b64 v2, v[37:38], v[33:34] offset0:52 offset1:160
	v_add_nc_u32_e32 v2, 0x3000, v125
	v_mov_b32_e32 v205, v22
	ds_write2_b64 v2, v[30:31], v[18:19] offset0:84 offset1:192
	v_add_nc_u32_e32 v2, 0x1400, v125
	ds_write2_b64 v2, v[233:234], v[8:9] offset0:116 offset1:224
	v_add_nc_u32_e32 v2, 0x3800, v125
	;; [unrolled: 2-line block ×4, first 2 shown]
	ds_write2_b64 v2, v[49:50], v[206:207] offset0:76 offset1:184
	ds_write2_b64 v125, v[53:54], v[43:44] offset0:108 offset1:216
	ds_write2_b64 v65, v[35:36], v[168:169] offset0:124 offset1:232
	ds_write2_b64 v55, v[24:25], v[231:232] offset0:28 offset1:136
	ds_write2_b64 v76, v[20:21], v[12:13] offset0:140 offset1:248
	ds_write2_b64 v60, v[45:46], v[51:52] offset0:4 offset1:112
	ds_write_b64 v125, v[0:1] offset:25056
	s_waitcnt lgkmcnt(0)
	s_barrier
	buffer_gl0_inv
	ds_read2_b64 v[0:3], v125 offset1:108
	ds_read2_b64 v[4:7], v57 offset0:56 offset1:164
	ds_read2_b64 v[8:11], v60 offset0:112 offset1:220
	s_waitcnt lgkmcnt(1)
	v_add_f32_e32 v12, v0, v4
	s_waitcnt lgkmcnt(0)
	v_add_f32_e32 v68, v4, v8
	v_sub_f32_e32 v45, v5, v9
	v_add_f32_e32 v13, v1, v5
	v_add_f32_e32 v60, v5, v9
	v_sub_f32_e32 v47, v4, v8
	v_add_f32_e32 v4, v2, v6
	v_add_f32_e32 v5, v3, v7
	;; [unrolled: 1-line block ×3, first 2 shown]
	v_sub_f32_e32 v49, v7, v11
	v_add_f32_e32 v67, v7, v11
	v_sub_f32_e32 v51, v6, v10
	v_add_f32_e32 v56, v12, v8
	v_add_f32_e32 v57, v13, v9
	;; [unrolled: 1-line block ×4, first 2 shown]
	ds_read2_b64 v[4:7], v71 offset0:88 offset1:196
	ds_read2_b64 v[8:11], v65 offset0:16 offset1:124
	ds_read2_b64 v[12:15], v63 offset0:72 offset1:180
	v_fma_f32 v0, -0.5, v68, v0
	v_fma_f32 v1, -0.5, v60, v1
	;; [unrolled: 1-line block ×3, first 2 shown]
	v_fmac_f32_e32 v3, -0.5, v67
	s_waitcnt lgkmcnt(1)
	v_add_f32_e32 v16, v4, v8
	s_waitcnt lgkmcnt(0)
	v_add_f32_e32 v65, v8, v12
	v_sub_f32_e32 v53, v9, v13
	v_add_f32_e32 v17, v5, v9
	v_add_f32_e32 v54, v9, v13
	v_sub_f32_e32 v55, v8, v12
	v_add_f32_e32 v8, v6, v10
	v_add_f32_e32 v9, v7, v11
	;; [unrolled: 1-line block ×3, first 2 shown]
	v_sub_f32_e32 v168, v11, v15
	v_add_f32_e32 v169, v11, v15
	v_sub_f32_e32 v170, v10, v14
	v_add_f32_e32 v32, v16, v12
	v_add_f32_e32 v33, v17, v13
	;; [unrolled: 1-line block ×4, first 2 shown]
	ds_read2_b64 v[8:11], v62 offset0:48 offset1:156
	ds_read2_b64 v[12:15], v61 offset0:104 offset1:212
	;; [unrolled: 1-line block ×3, first 2 shown]
	v_fma_f32 v6, -0.5, v64, v6
	v_fmac_f32_e32 v7, -0.5, v169
	s_waitcnt lgkmcnt(1)
	v_add_f32_e32 v20, v8, v12
	s_waitcnt lgkmcnt(0)
	v_add_f32_e32 v171, v12, v16
	v_sub_f32_e32 v206, v13, v17
	v_add_f32_e32 v21, v9, v13
	v_add_f32_e32 v207, v13, v17
	v_sub_f32_e32 v208, v12, v16
	v_add_f32_e32 v12, v10, v14
	v_add_f32_e32 v13, v11, v15
	;; [unrolled: 1-line block ×3, first 2 shown]
	v_sub_f32_e32 v232, v15, v19
	v_add_f32_e32 v233, v15, v19
	v_sub_f32_e32 v234, v14, v18
	v_add_f32_e32 v36, v20, v16
	v_add_f32_e32 v37, v21, v17
	;; [unrolled: 1-line block ×4, first 2 shown]
	ds_read2_b64 v[12:15], v22 offset0:136 offset1:244
	ds_read2_b64 v[16:19], v59 offset0:64 offset1:172
	ds_read2_b64 v[20:23], v75 offset0:120 offset1:228
	v_fma_f32 v10, -0.5, v231, v10
	v_fmac_f32_e32 v11, -0.5, v233
	s_waitcnt lgkmcnt(1)
	v_add_f32_e32 v24, v12, v16
	s_waitcnt lgkmcnt(0)
	v_add_f32_e32 v52, v16, v20
	v_sub_f32_e32 v59, v17, v21
	v_add_f32_e32 v25, v13, v17
	v_add_f32_e32 v48, v17, v21
	v_sub_f32_e32 v58, v16, v20
	v_add_f32_e32 v16, v14, v18
	v_add_f32_e32 v17, v15, v19
	;; [unrolled: 1-line block ×3, first 2 shown]
	v_sub_f32_e32 v61, v19, v23
	v_add_f32_e32 v62, v19, v23
	v_sub_f32_e32 v63, v18, v22
	v_add_f32_e32 v40, v24, v20
	v_add_f32_e32 v41, v25, v21
	;; [unrolled: 1-line block ×4, first 2 shown]
	ds_read2_b64 v[16:19], v78 offset0:96 offset1:204
	ds_read2_b64 v[20:23], v74 offset0:24 offset1:132
	;; [unrolled: 1-line block ×3, first 2 shown]
	s_waitcnt lgkmcnt(0)
	s_barrier
	buffer_gl0_inv
	v_fma_f32 v14, -0.5, v50, v14
	v_fmac_f32_e32 v15, -0.5, v62
	v_add_f32_e32 v28, v16, v20
	v_add_f32_e32 v66, v20, v24
	v_sub_f32_e32 v29, v20, v24
	v_add_f32_e32 v20, v18, v22
	v_add_f32_e32 v69, v22, v26
	v_sub_f32_e32 v73, v22, v26
	v_add_f32_e32 v81, v17, v21
	v_sub_f32_e32 v44, v21, v25
	v_add_f32_e32 v22, v20, v26
	buffer_load_dword v20, off, s[20:23], 0 offset:252 ; 4-byte Folded Reload
	v_add_f32_e32 v46, v21, v25
	v_add_f32_e32 v82, v28, v24
	;; [unrolled: 1-line block ×3, first 2 shown]
	v_fmamk_f32 v24, v45, 0xbf5db3d7, v0
	v_fmamk_f32 v25, v47, 0x3f5db3d7, v1
	v_fmac_f32_e32 v0, 0x3f5db3d7, v45
	v_fmac_f32_e32 v1, 0xbf5db3d7, v47
	v_add_f32_e32 v21, v23, v27
	v_sub_f32_e32 v70, v23, v27
	v_add_f32_e32 v71, v19, v23
	v_fma_f32 v18, -0.5, v69, v18
	v_mov_b32_e32 v81, v96
	v_fmac_f32_e32 v19, -0.5, v21
	v_add_f32_e32 v23, v71, v27
	s_waitcnt vmcnt(0)
	ds_write2_b64 v20, v[56:57], v[24:25] offset1:1
	ds_write_b64 v20, v[0:1] offset:16
	buffer_load_dword v20, off, s[20:23], 0 offset:256 ; 4-byte Folded Reload
	v_fmamk_f32 v0, v49, 0xbf5db3d7, v2
	v_fmamk_f32 v1, v51, 0x3f5db3d7, v3
	v_fmac_f32_e32 v2, 0x3f5db3d7, v49
	v_fmac_f32_e32 v3, 0xbf5db3d7, v51
	s_waitcnt vmcnt(0)
	ds_write2_b64 v20, v[30:31], v[0:1] offset1:1
	v_fma_f32 v0, -0.5, v65, v4
	buffer_load_dword v4, off, s[20:23], 0 offset:260 ; 4-byte Folded Reload
	v_fma_f32 v1, -0.5, v54, v5
	ds_write_b64 v20, v[2:3] offset:16
	v_fmamk_f32 v2, v53, 0xbf5db3d7, v0
	v_fmac_f32_e32 v0, 0x3f5db3d7, v53
	v_fmamk_f32 v3, v55, 0x3f5db3d7, v1
	v_fmac_f32_e32 v1, 0xbf5db3d7, v55
	s_waitcnt vmcnt(0)
	ds_write2_b64 v4, v[32:33], v[2:3] offset1:1
	buffer_load_dword v2, off, s[20:23], 0 offset:264 ; 4-byte Folded Reload
	ds_write_b64 v4, v[0:1] offset:16
	buffer_load_dword v4, off, s[20:23], 0 offset:272 ; 4-byte Folded Reload
	v_fmamk_f32 v0, v168, 0xbf5db3d7, v6
	v_fmamk_f32 v1, v170, 0x3f5db3d7, v7
	v_fmac_f32_e32 v6, 0x3f5db3d7, v168
	v_fmac_f32_e32 v7, 0xbf5db3d7, v170
	v_mov_b32_e32 v170, v75
	s_waitcnt vmcnt(1)
	ds_write2_b64 v2, v[34:35], v[0:1] offset1:1
	v_fma_f32 v0, -0.5, v171, v8
	v_fma_f32 v1, -0.5, v207, v9
	ds_write_b64 v2, v[6:7] offset:16
	v_mov_b32_e32 v171, v77
	v_mov_b32_e32 v207, v79
	v_fmamk_f32 v2, v206, 0xbf5db3d7, v0
	v_fmamk_f32 v3, v208, 0x3f5db3d7, v1
	v_fmac_f32_e32 v0, 0x3f5db3d7, v206
	v_fmac_f32_e32 v1, 0xbf5db3d7, v208
	v_mov_b32_e32 v206, v76
	s_waitcnt vmcnt(0)
	ds_write2_b64 v4, v[36:37], v[2:3] offset1:1
	buffer_load_dword v2, off, s[20:23], 0 offset:268 ; 4-byte Folded Reload
	ds_write_b64 v4, v[0:1] offset:16
	buffer_load_dword v4, off, s[20:23], 0 offset:276 ; 4-byte Folded Reload
	v_fmamk_f32 v0, v232, 0xbf5db3d7, v10
	v_fmamk_f32 v1, v234, 0x3f5db3d7, v11
	v_fmac_f32_e32 v10, 0x3f5db3d7, v232
	v_fmac_f32_e32 v11, 0xbf5db3d7, v234
	s_waitcnt vmcnt(1)
	ds_write2_b64 v2, v[38:39], v[0:1] offset1:1
	v_fma_f32 v0, -0.5, v52, v12
	v_fma_f32 v1, -0.5, v48, v13
	ds_write_b64 v2, v[10:11] offset:16
	v_fmamk_f32 v2, v59, 0xbf5db3d7, v0
	v_fmamk_f32 v3, v58, 0x3f5db3d7, v1
	v_fmac_f32_e32 v0, 0x3f5db3d7, v59
	v_fmac_f32_e32 v1, 0xbf5db3d7, v58
	s_waitcnt vmcnt(0)
	ds_write2_b64 v4, v[40:41], v[2:3] offset1:1
	buffer_load_dword v2, off, s[20:23], 0 offset:280 ; 4-byte Folded Reload
	ds_write_b64 v4, v[0:1] offset:16
	buffer_load_dword v4, off, s[20:23], 0 offset:284 ; 4-byte Folded Reload
	v_fmamk_f32 v0, v61, 0xbf5db3d7, v14
	v_fmamk_f32 v1, v63, 0x3f5db3d7, v15
	v_fmac_f32_e32 v14, 0x3f5db3d7, v61
	v_fmac_f32_e32 v15, 0xbf5db3d7, v63
	s_waitcnt vmcnt(1)
	ds_write2_b64 v2, v[42:43], v[0:1] offset1:1
	v_fma_f32 v0, -0.5, v66, v16
	v_fma_f32 v1, -0.5, v46, v17
	ds_write_b64 v2, v[14:15] offset:16
	v_fmamk_f32 v2, v44, 0xbf5db3d7, v0
	v_fmamk_f32 v3, v29, 0x3f5db3d7, v1
	v_fmac_f32_e32 v0, 0x3f5db3d7, v44
	v_fmac_f32_e32 v1, 0xbf5db3d7, v29
	s_waitcnt vmcnt(0)
	ds_write2_b64 v4, v[82:83], v[2:3] offset1:1
	buffer_load_dword v2, off, s[20:23], 0 offset:288 ; 4-byte Folded Reload
	ds_write_b64 v4, v[0:1] offset:16
	v_fmamk_f32 v0, v70, 0xbf5db3d7, v18
	v_fmamk_f32 v1, v73, 0x3f5db3d7, v19
	v_fmac_f32_e32 v18, 0x3f5db3d7, v70
	v_fmac_f32_e32 v19, 0xbf5db3d7, v73
	v_mov_b32_e32 v82, v74
	v_mov_b32_e32 v83, v78
	s_waitcnt vmcnt(0)
	ds_write2_b64 v2, v[22:23], v[0:1] offset1:1
	ds_write_b64 v2, v[18:19] offset:16
	s_waitcnt lgkmcnt(0)
	s_barrier
	buffer_gl0_inv
	ds_read2_b64 v[0:3], v127 offset0:56 offset1:164
	s_clause 0x3
	buffer_load_dword v9, off, s[20:23], 0 offset:308
	buffer_load_dword v10, off, s[20:23], 0 offset:312
	buffer_load_dword v11, off, s[20:23], 0 offset:316
	buffer_load_dword v12, off, s[20:23], 0 offset:320
	ds_read2_b64 v[4:7], v126 offset0:112 offset1:220
	s_waitcnt vmcnt(2) lgkmcnt(1)
	v_mul_f32_e32 v8, v10, v1
	v_fmac_f32_e32 v8, v9, v0
	v_mul_f32_e32 v0, v10, v0
	s_waitcnt vmcnt(0) lgkmcnt(0)
	v_mul_f32_e32 v10, v12, v5
	v_fma_f32 v9, v9, v1, -v0
	v_mul_f32_e32 v0, v12, v4
	s_clause 0x3
	buffer_load_dword v12, off, s[20:23], 0 offset:292
	buffer_load_dword v13, off, s[20:23], 0 offset:296
	;; [unrolled: 1-line block ×4, first 2 shown]
	v_fmac_f32_e32 v10, v11, v4
	v_fma_f32 v11, v11, v5, -v0
	v_sub_f32_e32 v61, v8, v10
	v_sub_f32_e32 v60, v9, v11
	s_waitcnt vmcnt(2)
	v_mul_f32_e32 v0, v13, v2
	v_mul_f32_e32 v24, v13, v3
	s_waitcnt vmcnt(0)
	v_mul_f32_e32 v26, v15, v7
	v_fma_f32 v25, v12, v3, -v0
	v_mul_f32_e32 v0, v15, v6
	v_fmac_f32_e32 v24, v12, v2
	v_fmac_f32_e32 v26, v14, v6
	v_fma_f32 v27, v14, v7, -v0
	ds_read2_b64 v[0:3], v124 offset0:16 offset1:124
	s_clause 0x3
	buffer_load_dword v12, off, s[20:23], 0 offset:380
	buffer_load_dword v13, off, s[20:23], 0 offset:384
	;; [unrolled: 1-line block ×4, first 2 shown]
	ds_read2_b64 v[4:7], v80 offset0:72 offset1:180
	s_waitcnt vmcnt(2) lgkmcnt(1)
	v_mul_f32_e32 v28, v13, v1
	s_waitcnt vmcnt(0) lgkmcnt(0)
	v_mul_f32_e32 v30, v15, v5
	v_fmac_f32_e32 v28, v12, v0
	v_mul_f32_e32 v0, v13, v0
	v_fmac_f32_e32 v30, v14, v4
	v_fma_f32 v29, v12, v1, -v0
	v_mul_f32_e32 v0, v15, v4
	v_fma_f32 v31, v14, v5, -v0
	s_clause 0x3
	buffer_load_dword v12, off, s[20:23], 0 offset:324
	buffer_load_dword v13, off, s[20:23], 0 offset:328
	;; [unrolled: 1-line block ×4, first 2 shown]
	s_waitcnt vmcnt(2)
	v_mul_f32_e32 v0, v13, v2
	v_mul_f32_e32 v32, v13, v3
	s_waitcnt vmcnt(0)
	v_mul_f32_e32 v34, v15, v7
	v_fma_f32 v33, v12, v3, -v0
	v_mul_f32_e32 v0, v15, v6
	v_fmac_f32_e32 v32, v12, v2
	v_fmac_f32_e32 v34, v14, v6
	v_fma_f32 v35, v14, v7, -v0
	ds_read2_b64 v[0:3], v79 offset0:104 offset1:212
	ds_read2_b64 v[4:7], v76 offset0:32 offset1:140
	s_clause 0x3
	buffer_load_dword v12, off, s[20:23], 0 offset:540
	buffer_load_dword v13, off, s[20:23], 0 offset:544
	;; [unrolled: 1-line block ×4, first 2 shown]
	s_waitcnt lgkmcnt(1)
	v_mul_f32_e32 v36, v236, v1
	s_waitcnt lgkmcnt(0)
	v_mul_f32_e32 v38, v238, v5
	v_fmac_f32_e32 v36, v235, v0
	v_mul_f32_e32 v0, v236, v0
	v_fmac_f32_e32 v38, v237, v4
	v_fma_f32 v37, v235, v1, -v0
	v_mul_f32_e32 v0, v238, v4
	v_fma_f32 v39, v237, v5, -v0
	s_waitcnt vmcnt(2)
	v_mul_f32_e32 v0, v13, v2
	v_mul_f32_e32 v40, v13, v3
	s_waitcnt vmcnt(0)
	v_mul_f32_e32 v42, v15, v7
	v_fma_f32 v41, v12, v3, -v0
	v_mul_f32_e32 v0, v15, v6
	v_fmac_f32_e32 v40, v12, v2
	v_fmac_f32_e32 v42, v14, v6
	v_fma_f32 v43, v14, v7, -v0
	ds_read2_b64 v[0:3], v77 offset0:64 offset1:172
	ds_read2_b64 v[4:7], v75 offset0:120 offset1:228
	s_waitcnt lgkmcnt(1)
	v_mul_f32_e32 v44, v222, v1
	v_mul_f32_e32 v48, v226, v3
	s_waitcnt lgkmcnt(0)
	v_mul_f32_e32 v46, v224, v5
	v_mul_f32_e32 v50, v228, v7
	v_fmac_f32_e32 v44, v221, v0
	v_mul_f32_e32 v0, v222, v0
	v_fmac_f32_e32 v48, v225, v2
	v_fmac_f32_e32 v46, v223, v4
	;; [unrolled: 1-line block ×3, first 2 shown]
	v_fma_f32 v45, v221, v1, -v0
	v_mul_f32_e32 v0, v224, v4
	v_fma_f32 v47, v223, v5, -v0
	v_mul_f32_e32 v0, v226, v2
	;; [unrolled: 2-line block ×3, first 2 shown]
	v_fma_f32 v51, v227, v7, -v0
	ds_read2_b64 v[0:3], v74 offset0:24 offset1:132
	ds_read2_b64 v[4:7], v96 offset0:80 offset1:188
	s_waitcnt lgkmcnt(1)
	v_mul_f32_e32 v52, v214, v1
	v_mul_f32_e32 v56, v218, v3
	s_waitcnt lgkmcnt(0)
	v_mul_f32_e32 v54, v216, v5
	v_mul_f32_e32 v58, v220, v7
	v_fmac_f32_e32 v52, v213, v0
	v_mul_f32_e32 v0, v214, v0
	v_fmac_f32_e32 v56, v217, v2
	v_fmac_f32_e32 v54, v215, v4
	;; [unrolled: 1-line block ×3, first 2 shown]
	v_fma_f32 v53, v213, v1, -v0
	v_mul_f32_e32 v0, v216, v4
	v_fma_f32 v55, v215, v5, -v0
	v_mul_f32_e32 v0, v218, v2
	;; [unrolled: 2-line block ×3, first 2 shown]
	v_fma_f32 v59, v219, v7, -v0
	ds_read2_b64 v[0:3], v125 offset1:108
	s_waitcnt lgkmcnt(0)
	v_add_f32_e32 v4, v0, v8
	v_add_f32_e32 v5, v1, v9
	;; [unrolled: 1-line block ×6, first 2 shown]
	v_fma_f32 v1, -0.5, v4, v1
	v_fma_f32 v0, -0.5, v5, v0
	ds_read2_b64 v[4:7], v204 offset0:88 offset1:196
	ds_read2_b64 v[8:11], v103 offset0:48 offset1:156
	;; [unrolled: 1-line block ×4, first 2 shown]
	s_waitcnt lgkmcnt(0)
	s_barrier
	buffer_gl0_inv
	buffer_load_dword v62, off, s[20:23], 0 offset:340 ; 4-byte Folded Reload
	v_fmamk_f32 v22, v60, 0xbf5db3d7, v0
	v_fmamk_f32 v23, v61, 0x3f5db3d7, v1
	v_fmac_f32_e32 v0, 0x3f5db3d7, v60
	v_fmac_f32_e32 v1, 0xbf5db3d7, v61
	s_waitcnt vmcnt(0)
	ds_write2_b64 v62, v[20:21], v[22:23] offset1:3
	ds_write_b64 v62, v[0:1] offset:48
	v_add_f32_e32 v0, v24, v26
	v_add_f32_e32 v1, v2, v24
	v_sub_f32_e32 v23, v24, v26
	buffer_load_dword v24, off, s[20:23], 0 offset:344 ; 4-byte Folded Reload
	v_add_f32_e32 v20, v3, v25
	v_fma_f32 v2, -0.5, v0, v2
	v_add_f32_e32 v0, v1, v26
	v_sub_f32_e32 v22, v25, v27
	v_add_f32_e32 v1, v20, v27
	v_add_f32_e32 v20, v25, v27
	v_fmac_f32_e32 v3, -0.5, v20
	v_fmamk_f32 v20, v22, 0xbf5db3d7, v2
	v_fmac_f32_e32 v2, 0x3f5db3d7, v22
	buffer_load_dword v22, off, s[20:23], 0 offset:348 ; 4-byte Folded Reload
	v_fmamk_f32 v21, v23, 0x3f5db3d7, v3
	v_fmac_f32_e32 v3, 0xbf5db3d7, v23
	s_waitcnt vmcnt(1)
	ds_write_b64 v24, v[2:3] offset:48
	v_add_f32_e32 v2, v28, v30
	ds_write2_b64 v24, v[0:1], v[20:21] offset1:3
	v_sub_f32_e32 v20, v29, v31
	v_add_f32_e32 v0, v4, v28
	v_add_f32_e32 v3, v29, v31
	v_fma_f32 v2, -0.5, v2, v4
	v_add_f32_e32 v1, v5, v29
	v_sub_f32_e32 v21, v28, v30
	v_add_f32_e32 v0, v0, v30
	v_fma_f32 v3, -0.5, v3, v5
	v_fmamk_f32 v4, v20, 0xbf5db3d7, v2
	v_fmac_f32_e32 v2, 0x3f5db3d7, v20
	buffer_load_dword v20, off, s[20:23], 0 offset:352 ; 4-byte Folded Reload
	v_add_f32_e32 v1, v1, v31
	v_fmamk_f32 v5, v21, 0x3f5db3d7, v3
	v_fmac_f32_e32 v3, 0xbf5db3d7, v21
	s_waitcnt vmcnt(1)
	ds_write2_b64 v22, v[0:1], v[4:5] offset1:3
	ds_write_b64 v22, v[2:3] offset:48
	v_add_f32_e32 v0, v32, v34
	v_add_f32_e32 v1, v6, v32
	;; [unrolled: 1-line block ×3, first 2 shown]
	v_sub_f32_e32 v4, v33, v35
	v_sub_f32_e32 v5, v32, v34
	v_fma_f32 v6, -0.5, v0, v6
	v_add_f32_e32 v0, v1, v34
	v_add_f32_e32 v1, v2, v35
	;; [unrolled: 1-line block ×3, first 2 shown]
	v_fmac_f32_e32 v7, -0.5, v2
	v_fmamk_f32 v2, v4, 0xbf5db3d7, v6
	v_fmac_f32_e32 v6, 0x3f5db3d7, v4
	v_fmamk_f32 v3, v5, 0x3f5db3d7, v7
	v_fmac_f32_e32 v7, 0xbf5db3d7, v5
	s_waitcnt vmcnt(0)
	ds_write2_b64 v20, v[0:1], v[2:3] offset1:3
	v_add_f32_e32 v2, v36, v38
	v_add_f32_e32 v0, v8, v36
	ds_write_b64 v20, v[6:7] offset:48
	v_sub_f32_e32 v6, v37, v39
	v_add_f32_e32 v3, v37, v39
	v_fma_f32 v2, -0.5, v2, v8
	buffer_load_dword v8, off, s[20:23], 0 offset:356 ; 4-byte Folded Reload
	v_add_f32_e32 v1, v9, v37
	v_sub_f32_e32 v7, v36, v38
	v_fma_f32 v3, -0.5, v3, v9
	v_fmamk_f32 v4, v6, 0xbf5db3d7, v2
	v_fmac_f32_e32 v2, 0x3f5db3d7, v6
	buffer_load_dword v6, off, s[20:23], 0 offset:360 ; 4-byte Folded Reload
	v_add_f32_e32 v0, v0, v38
	v_add_f32_e32 v1, v1, v39
	v_fmamk_f32 v5, v7, 0x3f5db3d7, v3
	v_fmac_f32_e32 v3, 0xbf5db3d7, v7
	v_sub_f32_e32 v7, v44, v46
	s_waitcnt vmcnt(1)
	ds_write2_b64 v8, v[0:1], v[4:5] offset1:3
	ds_write_b64 v8, v[2:3] offset:48
	v_add_f32_e32 v0, v40, v42
	v_add_f32_e32 v1, v10, v40
	;; [unrolled: 1-line block ×3, first 2 shown]
	v_sub_f32_e32 v4, v41, v43
	v_sub_f32_e32 v5, v40, v42
	v_fma_f32 v10, -0.5, v0, v10
	v_add_f32_e32 v0, v1, v42
	v_add_f32_e32 v1, v2, v43
	;; [unrolled: 1-line block ×3, first 2 shown]
	buffer_load_dword v8, off, s[20:23], 0 offset:376 ; 4-byte Folded Reload
	v_fmac_f32_e32 v11, -0.5, v2
	v_fmamk_f32 v2, v4, 0xbf5db3d7, v10
	v_fmac_f32_e32 v10, 0x3f5db3d7, v4
	v_fmamk_f32 v3, v5, 0x3f5db3d7, v11
	v_fmac_f32_e32 v11, 0xbf5db3d7, v5
	s_waitcnt vmcnt(1)
	ds_write2_b64 v6, v[0:1], v[2:3] offset1:3
	v_add_f32_e32 v2, v44, v46
	ds_write_b64 v6, v[10:11] offset:48
	v_sub_f32_e32 v6, v45, v47
	v_add_f32_e32 v3, v45, v47
	v_add_f32_e32 v0, v12, v44
	v_fma_f32 v2, -0.5, v2, v12
	v_add_f32_e32 v1, v13, v45
	v_fma_f32 v3, -0.5, v3, v13
	v_add_f32_e32 v0, v0, v46
	v_fmamk_f32 v4, v6, 0xbf5db3d7, v2
	v_fmac_f32_e32 v2, 0x3f5db3d7, v6
	buffer_load_dword v6, off, s[20:23], 0 offset:372 ; 4-byte Folded Reload
	v_add_f32_e32 v1, v1, v47
	v_fmamk_f32 v5, v7, 0x3f5db3d7, v3
	v_fmac_f32_e32 v3, 0xbf5db3d7, v7
	v_sub_f32_e32 v7, v52, v54
	s_waitcnt vmcnt(1)
	ds_write2_b64 v8, v[0:1], v[4:5] offset1:3
	ds_write_b64 v8, v[2:3] offset:48
	buffer_load_dword v8, off, s[20:23], 0 offset:368 ; 4-byte Folded Reload
	v_add_f32_e32 v0, v48, v50
	v_add_f32_e32 v1, v14, v48
	;; [unrolled: 1-line block ×3, first 2 shown]
	v_sub_f32_e32 v4, v49, v51
	v_sub_f32_e32 v5, v48, v50
	v_fma_f32 v14, -0.5, v0, v14
	v_add_f32_e32 v0, v1, v50
	v_add_f32_e32 v1, v2, v51
	;; [unrolled: 1-line block ×3, first 2 shown]
	v_fmac_f32_e32 v15, -0.5, v2
	v_fmamk_f32 v2, v4, 0xbf5db3d7, v14
	v_fmac_f32_e32 v14, 0x3f5db3d7, v4
	v_fmamk_f32 v3, v5, 0x3f5db3d7, v15
	v_fmac_f32_e32 v15, 0xbf5db3d7, v5
	s_waitcnt vmcnt(1)
	ds_write2_b64 v6, v[0:1], v[2:3] offset1:3
	v_add_f32_e32 v2, v52, v54
	ds_write_b64 v6, v[14:15] offset:48
	v_sub_f32_e32 v6, v53, v55
	v_add_f32_e32 v3, v53, v55
	v_add_f32_e32 v0, v16, v52
	v_fma_f32 v2, -0.5, v2, v16
	v_add_f32_e32 v1, v17, v53
	v_fma_f32 v3, -0.5, v3, v17
	v_add_f32_e32 v0, v0, v54
	v_fmamk_f32 v4, v6, 0xbf5db3d7, v2
	v_fmac_f32_e32 v2, 0x3f5db3d7, v6
	buffer_load_dword v6, off, s[20:23], 0 offset:364 ; 4-byte Folded Reload
	v_add_f32_e32 v1, v1, v55
	v_fmamk_f32 v5, v7, 0x3f5db3d7, v3
	v_fmac_f32_e32 v3, 0xbf5db3d7, v7
	s_waitcnt vmcnt(1)
	ds_write2_b64 v8, v[0:1], v[4:5] offset1:3
	ds_write_b64 v8, v[2:3] offset:48
	v_add_f32_e32 v0, v56, v58
	v_add_f32_e32 v1, v18, v56
	v_add_f32_e32 v2, v19, v57
	v_sub_f32_e32 v4, v57, v59
	v_sub_f32_e32 v5, v56, v58
	v_fma_f32 v18, -0.5, v0, v18
	v_add_f32_e32 v0, v1, v58
	v_add_f32_e32 v1, v2, v59
	;; [unrolled: 1-line block ×3, first 2 shown]
	v_fmac_f32_e32 v19, -0.5, v2
	v_fmamk_f32 v2, v4, 0xbf5db3d7, v18
	v_fmac_f32_e32 v18, 0x3f5db3d7, v4
	v_fmamk_f32 v3, v5, 0x3f5db3d7, v19
	v_fmac_f32_e32 v19, 0xbf5db3d7, v5
	s_waitcnt vmcnt(0)
	ds_write2_b64 v6, v[0:1], v[2:3] offset1:3
	ds_write_b64 v6, v[18:19] offset:48
	s_waitcnt lgkmcnt(0)
	s_barrier
	buffer_gl0_inv
	ds_read2_b64 v[0:3], v96 offset0:80 offset1:188
	s_clause 0x1
	buffer_load_dword v4, off, s[20:23], 0 offset:464
	buffer_load_dword v5, off, s[20:23], 0 offset:468
	s_waitcnt vmcnt(0) lgkmcnt(0)
	v_mul_f32_e32 v31, v5, v1
	v_fmac_f32_e32 v31, v4, v0
	v_mul_f32_e32 v0, v5, v0
	v_fma_f32 v30, v4, v1, -v0
	s_clause 0x1
	buffer_load_dword v4, off, s[20:23], 0 offset:452
	buffer_load_dword v5, off, s[20:23], 0 offset:456
	s_waitcnt vmcnt(0)
	v_mul_f32_e32 v7, v5, v3
	v_mul_f32_e32 v0, v5, v2
	v_fmac_f32_e32 v7, v4, v2
	v_fma_f32 v6, v4, v3, -v0
	ds_read2_b64 v[0:3], v75 offset0:120 offset1:228
	s_clause 0x1
	buffer_load_dword v4, off, s[20:23], 0 offset:428
	buffer_load_dword v5, off, s[20:23], 0 offset:432
	s_waitcnt lgkmcnt(0)
	v_mul_f32_e32 v11, v107, v1
	v_fmac_f32_e32 v11, v106, v0
	v_mul_f32_e32 v0, v107, v0
	v_fma_f32 v10, v106, v1, -v0
	s_waitcnt vmcnt(0)
	v_mul_f32_e32 v169, v5, v3
	v_fmac_f32_e32 v169, v4, v2
	v_mul_f32_e32 v2, v5, v2
	v_fma_f32 v168, v4, v3, -v2
	ds_read2_b64 v[0:3], v80 offset0:72 offset1:180
	s_waitcnt lgkmcnt(0)
	v_mul_f32_e32 v9, v105, v3
	v_mul_f32_e32 v33, v85, v1
	v_fmac_f32_e32 v9, v104, v2
	v_mul_f32_e32 v2, v105, v2
	v_fmac_f32_e32 v33, v84, v0
	v_mul_f32_e32 v0, v85, v0
	v_fma_f32 v8, v104, v3, -v2
	v_fma_f32 v21, v84, v1, -v0
	ds_read2_b64 v[0:3], v76 offset0:32 offset1:140
	s_waitcnt lgkmcnt(0)
	v_mul_f32_e32 v36, v87, v3
	v_mul_f32_e32 v96, v175, v1
	v_fmac_f32_e32 v36, v86, v2
	v_mul_f32_e32 v2, v87, v2
	v_fmac_f32_e32 v96, v174, v0
	v_mul_f32_e32 v0, v175, v0
	v_fma_f32 v35, v86, v3, -v2
	;; [unrolled: 10-line block ×5, first 2 shown]
	v_fma_f32 v71, v190, v1, -v0
	ds_read2_b64 v[0:3], v79 offset0:104 offset1:212
	s_waitcnt lgkmcnt(0)
	v_mul_f32_e32 v70, v189, v3
	v_mul_f32_e32 v27, v203, v1
	v_fmac_f32_e32 v70, v188, v2
	v_mul_f32_e32 v2, v189, v2
	v_fmac_f32_e32 v27, v202, v0
	v_mul_f32_e32 v0, v203, v0
	v_sub_f32_e32 v74, v70, v86
	v_fma_f32 v68, v188, v3, -v2
	v_fma_f32 v26, v202, v1, -v0
	ds_read2_b64 v[0:3], v127 offset0:56 offset1:164
	v_sub_f32_e32 v75, v68, v84
	s_waitcnt lgkmcnt(0)
	v_mul_f32_e32 v25, v201, v3
	v_mul_f32_e32 v43, v193, v1
	v_fmac_f32_e32 v25, v200, v2
	v_mul_f32_e32 v2, v201, v2
	v_fmac_f32_e32 v43, v192, v0
	v_mul_f32_e32 v0, v193, v0
	v_fma_f32 v20, v200, v3, -v2
	v_fma_f32 v38, v192, v1, -v0
	ds_read2_b64 v[0:3], v124 offset0:16 offset1:124
	s_waitcnt lgkmcnt(0)
	v_mul_f32_e32 v61, v195, v3
	v_mul_f32_e32 v63, v212, v1
	v_fmac_f32_e32 v61, v194, v2
	v_mul_f32_e32 v2, v195, v2
	v_fmac_f32_e32 v63, v211, v0
	v_mul_f32_e32 v0, v212, v0
	v_fma_f32 v60, v194, v3, -v2
	v_sub_f32_e32 v57, v63, v72
	v_fma_f32 v62, v211, v1, -v0
	ds_read2_b64 v[0:3], v78 offset0:96 offset1:204
	v_add_f32_e32 v49, v62, v71
	v_sub_f32_e32 v91, v62, v71
	s_waitcnt lgkmcnt(0)
	v_mul_f32_e32 v47, v210, v3
	v_mul_f32_e32 v28, v183, v1
	v_fmac_f32_e32 v47, v209, v2
	v_mul_f32_e32 v2, v210, v2
	v_fmac_f32_e32 v28, v182, v0
	v_mul_f32_e32 v0, v183, v0
	v_sub_f32_e32 v76, v47, v169
	v_fma_f32 v46, v209, v3, -v2
	v_fma_f32 v29, v182, v1, -v0
	ds_read2_b64 v[0:3], v103 offset0:48 offset1:156
	v_sub_f32_e32 v77, v46, v168
	s_waitcnt lgkmcnt(0)
	v_mul_f32_e32 v23, v181, v3
	v_mul_f32_e32 v40, v197, v1
	v_fmac_f32_e32 v23, v180, v2
	v_mul_f32_e32 v2, v181, v2
	v_fmac_f32_e32 v40, v196, v0
	v_mul_f32_e32 v0, v197, v0
	v_fma_f32 v24, v180, v3, -v2
	v_fma_f32 v42, v196, v1, -v0
	ds_read2_b64 v[0:3], v205 offset0:136 offset1:244
	s_clause 0x3
	buffer_load_dword v16, off, s[20:23], 0 offset:556
	buffer_load_dword v17, off, s[20:23], 0 offset:560
	;; [unrolled: 1-line block ×4, first 2 shown]
	s_waitcnt lgkmcnt(0)
	v_mul_f32_e32 v44, v199, v3
	v_fmac_f32_e32 v44, v198, v2
	v_mul_f32_e32 v2, v199, v2
	v_fma_f32 v45, v198, v3, -v2
	s_waitcnt vmcnt(0)
	v_mul_f32_e32 v53, v19, v1
	v_fmac_f32_e32 v53, v18, v0
	v_mul_f32_e32 v0, v19, v0
	v_sub_f32_e32 v56, v53, v96
	v_fma_f32 v52, v18, v1, -v0
	ds_read2_b64 v[0:3], v204 offset0:88 offset1:196
	v_sub_f32_e32 v97, v52, v87
	s_waitcnt lgkmcnt(0)
	v_mul_f32_e32 v18, v17, v3
	v_fmac_f32_e32 v18, v16, v2
	v_mul_f32_e32 v2, v17, v2
	v_fma_f32 v17, v16, v3, -v2
	v_sub_f32_e32 v2, v53, v63
	v_sub_f32_e32 v3, v96, v72
	v_add_f32_e32 v48, v17, v46
	v_add_f32_e32 v16, v2, v3
	v_sub_f32_e32 v2, v52, v62
	v_sub_f32_e32 v3, v87, v71
	v_add_f32_e32 v48, v48, v68
	v_add_f32_e32 v19, v2, v3
	;; [unrolled: 4-line block ×4, first 2 shown]
	v_add_f32_e32 v2, v70, v86
	v_fma_f32 v55, -0.5, v2, v18
	v_add_f32_e32 v2, v68, v84
	v_fmamk_f32 v3, v77, 0xbf737871, v55
	v_fma_f32 v69, -0.5, v2, v17
	v_fmac_f32_e32 v55, 0x3f737871, v77
	v_fmac_f32_e32 v3, 0xbf167918, v75
	v_fmamk_f32 v2, v76, 0x3f737871, v69
	v_fmac_f32_e32 v69, 0xbf737871, v76
	v_fmac_f32_e32 v55, 0x3f167918, v75
	;; [unrolled: 1-line block ×8, first 2 shown]
	v_mul_f32_e32 v78, 0xbf167918, v2
	v_mul_f32_e32 v85, 0x3f4f1bbd, v2
	v_fmac_f32_e32 v78, 0x3f4f1bbd, v3
	v_fmac_f32_e32 v85, 0x3f167918, v3
	ds_read2_b64 v[2:5], v125 offset1:108
	s_waitcnt lgkmcnt(0)
	s_barrier
	buffer_gl0_inv
	buffer_load_dword v64, off, s[20:23], 0 offset:460 ; 4-byte Folded Reload
	v_add_f32_e32 v22, v2, v53
	v_fma_f32 v88, -0.5, v49, v3
	v_add_f32_e32 v22, v22, v63
	v_add_f32_e32 v22, v22, v72
	;; [unrolled: 1-line block ×4, first 2 shown]
	v_fma_f32 v79, -0.5, v22, v2
	v_add_f32_e32 v22, v3, v52
	v_fmamk_f32 v89, v97, 0xbf737871, v79
	v_add_f32_e32 v22, v22, v62
	v_fmac_f32_e32 v79, 0x3f737871, v97
	v_fmac_f32_e32 v89, 0xbf167918, v91
	v_add_f32_e32 v32, v22, v71
	v_add_f32_e32 v22, v18, v47
	v_fmac_f32_e32 v79, 0x3f167918, v91
	v_fmac_f32_e32 v89, 0x3e9e377a, v16
	v_add_f32_e32 v32, v32, v87
	v_add_f32_e32 v22, v22, v70
	v_fmac_f32_e32 v79, 0x3e9e377a, v16
	v_add_f32_e32 v50, v89, v78
	v_add_f32_e32 v49, v22, v86
	v_fmamk_f32 v22, v56, 0x3f737871, v88
	v_fmac_f32_e32 v88, 0xbf737871, v56
	v_add_f32_e32 v58, v49, v169
	v_fmac_f32_e32 v22, 0x3f167918, v57
	v_add_f32_e32 v49, v32, v59
	;; [unrolled: 2-line block ×3, first 2 shown]
	v_fmac_f32_e32 v22, 0x3e9e377a, v19
	v_fmac_f32_e32 v88, 0x3e9e377a, v19
	v_mul_f32_e32 v19, 0xbf4f1bbd, v69
	v_add_f32_e32 v51, v22, v85
	v_fmac_f32_e32 v19, 0x3f167918, v55
	s_waitcnt vmcnt(0)
	ds_write2_b64 v64, v[48:49], v[50:51] offset1:9
	v_sub_f32_e32 v48, v63, v53
	v_sub_f32_e32 v49, v72, v96
	v_add_f32_e32 v50, v53, v96
	v_add_f32_e32 v51, v52, v87
	;; [unrolled: 1-line block ×3, first 2 shown]
	v_fma_f32 v49, -0.5, v50, v2
	v_sub_f32_e32 v2, v62, v52
	v_fma_f32 v51, -0.5, v51, v3
	v_sub_f32_e32 v52, v86, v169
	v_add_f32_e32 v3, v46, v168
	v_fmamk_f32 v50, v91, 0x3f737871, v49
	v_fmac_f32_e32 v49, 0xbf737871, v91
	v_fmamk_f32 v53, v57, 0xbf737871, v51
	v_fmac_f32_e32 v51, 0x3f737871, v57
	v_fmac_f32_e32 v17, -0.5, v3
	v_fmac_f32_e32 v50, 0xbf167918, v97
	v_fmac_f32_e32 v49, 0x3f167918, v97
	;; [unrolled: 1-line block ×4, first 2 shown]
	v_sub_f32_e32 v3, v68, v46
	v_fmac_f32_e32 v50, 0x3e9e377a, v48
	v_fmac_f32_e32 v49, 0x3e9e377a, v48
	v_sub_f32_e32 v48, v71, v87
	v_sub_f32_e32 v46, v84, v168
	;; [unrolled: 1-line block ×4, first 2 shown]
	v_add_f32_e32 v2, v2, v48
	v_sub_f32_e32 v48, v70, v47
	v_add_f32_e32 v47, v47, v169
	v_fmac_f32_e32 v53, 0x3e9e377a, v2
	v_fmac_f32_e32 v51, 0x3e9e377a, v2
	v_fmac_f32_e32 v18, -0.5, v47
	v_add_f32_e32 v2, v48, v52
	v_fmamk_f32 v47, v75, 0x3f737871, v18
	v_fmac_f32_e32 v18, 0xbf737871, v75
	v_fmac_f32_e32 v47, 0xbf167918, v77
	;; [unrolled: 1-line block ×5, first 2 shown]
	v_add_f32_e32 v2, v3, v46
	v_fmamk_f32 v3, v74, 0xbf737871, v17
	v_fmac_f32_e32 v17, 0x3f737871, v74
	v_fmac_f32_e32 v3, 0x3f167918, v76
	v_fmac_f32_e32 v17, 0xbf167918, v76
	v_fmac_f32_e32 v3, 0x3e9e377a, v2
	v_fmac_f32_e32 v17, 0x3e9e377a, v2
	v_mul_f32_e32 v46, 0xbf737871, v3
	v_mul_f32_e32 v48, 0x3e9e377a, v3
	v_mul_f32_e32 v52, 0xbe9e377a, v17
	v_fmac_f32_e32 v46, 0x3e9e377a, v47
	v_fmac_f32_e32 v48, 0x3f737871, v47
	v_mul_f32_e32 v47, 0xbf737871, v17
	v_fmac_f32_e32 v52, 0x3f737871, v18
	v_add_f32_e32 v2, v50, v46
	v_add_f32_e32 v3, v53, v48
	v_fmac_f32_e32 v47, 0xbe9e377a, v18
	v_add_f32_e32 v18, v51, v52
	v_add_f32_e32 v17, v49, v47
	ds_write2_b64 v64, v[2:3], v[17:18] offset0:18 offset1:27
	v_mul_f32_e32 v18, 0xbf167918, v69
	v_sub_f32_e32 v2, v90, v58
	v_sub_f32_e32 v3, v32, v59
	v_add_f32_e32 v17, v88, v19
	v_sub_f32_e32 v58, v60, v39
	v_fmac_f32_e32 v18, 0xbf4f1bbd, v55
	v_add_f32_e32 v16, v79, v18
	ds_write2_b64 v64, v[16:17], v[2:3] offset0:36 offset1:45
	v_sub_f32_e32 v2, v89, v78
	v_sub_f32_e32 v3, v22, v85
	v_sub_f32_e32 v16, v50, v46
	v_sub_f32_e32 v17, v53, v48
	v_sub_f32_e32 v48, v43, v31
	v_sub_f32_e32 v50, v38, v30
	ds_write2_b64 v64, v[2:3], v[16:17] offset0:54 offset1:63
	v_sub_f32_e32 v2, v49, v47
	v_sub_f32_e32 v3, v51, v52
	;; [unrolled: 1-line block ×6, first 2 shown]
	ds_write2_b64 v64, v[2:3], v[16:17] offset0:72 offset1:81
	v_sub_f32_e32 v2, v44, v61
	v_sub_f32_e32 v3, v36, v41
	v_add_f32_e32 v17, v60, v39
	v_add_f32_e32 v16, v42, v38
	v_sub_f32_e32 v64, v61, v41
	v_add_f32_e32 v18, v2, v3
	v_sub_f32_e32 v2, v45, v60
	v_sub_f32_e32 v3, v35, v39
	v_fma_f32 v59, -0.5, v17, v5
	v_add_f32_e32 v16, v16, v34
	v_add_f32_e32 v19, v2, v3
	v_sub_f32_e32 v2, v43, v37
	v_sub_f32_e32 v3, v31, v33
	v_fmamk_f32 v63, v62, 0x3f737871, v59
	v_add_f32_e32 v16, v16, v21
	v_fmac_f32_e32 v59, 0xbf737871, v62
	v_add_f32_e32 v22, v2, v3
	v_sub_f32_e32 v2, v38, v34
	v_sub_f32_e32 v3, v30, v21
	v_fmac_f32_e32 v63, 0x3f167918, v64
	v_add_f32_e32 v67, v16, v30
	v_fmac_f32_e32 v59, 0xbf167918, v64
	v_add_f32_e32 v32, v2, v3
	v_add_f32_e32 v2, v37, v33
	v_fmac_f32_e32 v63, 0x3e9e377a, v19
	v_fmac_f32_e32 v59, 0x3e9e377a, v19
	v_fma_f32 v46, -0.5, v2, v40
	v_add_f32_e32 v2, v34, v21
	v_fmamk_f32 v3, v50, 0xbf737871, v46
	v_fma_f32 v47, -0.5, v2, v42
	v_fmac_f32_e32 v46, 0x3f737871, v50
	v_fmac_f32_e32 v3, 0xbf167918, v51
	v_fmamk_f32 v2, v48, 0x3f737871, v47
	v_fmac_f32_e32 v47, 0xbf737871, v48
	v_fmac_f32_e32 v46, 0x3f167918, v51
	;; [unrolled: 1-line block ×8, first 2 shown]
	v_sub_f32_e32 v32, v20, v6
	v_mul_f32_e32 v52, 0xbf167918, v2
	v_mul_f32_e32 v53, 0x3f4f1bbd, v2
	v_add_f32_e32 v2, v4, v44
	v_mul_f32_e32 v19, 0xbf4f1bbd, v47
	v_fmac_f32_e32 v52, 0x3f4f1bbd, v3
	v_fmac_f32_e32 v53, 0x3f167918, v3
	v_add_f32_e32 v2, v2, v61
	v_add_f32_e32 v3, v40, v43
	v_fmac_f32_e32 v19, 0x3f167918, v46
	v_add_f32_e32 v17, v63, v53
	v_add_f32_e32 v2, v2, v41
	;; [unrolled: 1-line block ×6, first 2 shown]
	v_fma_f32 v55, -0.5, v2, v4
	v_add_f32_e32 v2, v5, v45
	v_add_f32_e32 v66, v3, v31
	v_fmamk_f32 v57, v56, 0xbf737871, v55
	v_add_f32_e32 v2, v2, v60
	v_fmac_f32_e32 v55, 0x3f737871, v56
	v_fmac_f32_e32 v57, 0xbf167918, v58
	v_add_f32_e32 v2, v2, v39
	v_fmac_f32_e32 v55, 0x3f167918, v58
	v_fmac_f32_e32 v57, 0x3e9e377a, v18
	v_add_f32_e32 v65, v2, v35
	v_add_f32_e32 v2, v54, v66
	v_fmac_f32_e32 v55, 0x3e9e377a, v18
	v_mul_f32_e32 v18, 0xbf167918, v47
	v_add_f32_e32 v16, v57, v52
	v_add_f32_e32 v3, v65, v67
	v_fmac_f32_e32 v18, 0xbf4f1bbd, v46
	ds_write2_b64 v255, v[2:3], v[16:17] offset1:9
	v_add_f32_e32 v16, v44, v36
	v_add_f32_e32 v17, v45, v35
	v_sub_f32_e32 v2, v61, v44
	v_sub_f32_e32 v3, v41, v36
	;; [unrolled: 1-line block ×3, first 2 shown]
	v_fma_f32 v4, -0.5, v16, v4
	v_fmac_f32_e32 v5, -0.5, v17
	v_add_f32_e32 v16, v43, v31
	v_add_f32_e32 v2, v2, v3
	v_sub_f32_e32 v3, v60, v45
	v_fmamk_f32 v36, v58, 0x3f737871, v4
	v_fmac_f32_e32 v4, 0xbf737871, v58
	v_sub_f32_e32 v17, v33, v31
	v_fmamk_f32 v31, v64, 0xbf737871, v5
	v_fmac_f32_e32 v5, 0x3f737871, v64
	v_fmac_f32_e32 v36, 0xbf167918, v56
	;; [unrolled: 1-line block ×3, first 2 shown]
	v_fmac_f32_e32 v40, -0.5, v16
	v_fmac_f32_e32 v31, 0x3f167918, v62
	v_fmac_f32_e32 v5, 0xbf167918, v62
	;; [unrolled: 1-line block ×4, first 2 shown]
	v_add_f32_e32 v2, v3, v35
	v_sub_f32_e32 v3, v37, v43
	v_sub_f32_e32 v16, v21, v30
	v_sub_f32_e32 v44, v27, v15
	v_fmac_f32_e32 v31, 0x3e9e377a, v2
	v_fmac_f32_e32 v5, 0x3e9e377a, v2
	v_add_f32_e32 v2, v3, v17
	v_add_f32_e32 v3, v38, v30
	v_fmamk_f32 v17, v51, 0x3f737871, v40
	v_fmac_f32_e32 v40, 0xbf737871, v51
	v_fmac_f32_e32 v42, -0.5, v3
	v_sub_f32_e32 v3, v34, v38
	v_fmac_f32_e32 v17, 0xbf167918, v50
	v_fmac_f32_e32 v40, 0x3f167918, v50
	v_sub_f32_e32 v38, v29, v10
	v_fmac_f32_e32 v17, 0x3e9e377a, v2
	v_fmac_f32_e32 v40, 0x3e9e377a, v2
	v_add_f32_e32 v2, v3, v16
	v_fmamk_f32 v3, v49, 0xbf737871, v42
	v_fmac_f32_e32 v42, 0x3f737871, v49
	v_fmac_f32_e32 v3, 0x3f167918, v48
	;; [unrolled: 1-line block ×5, first 2 shown]
	v_mul_f32_e32 v21, 0xbf737871, v3
	v_mul_f32_e32 v30, 0x3e9e377a, v3
	;; [unrolled: 1-line block ×4, first 2 shown]
	v_sub_f32_e32 v42, v28, v11
	v_fmac_f32_e32 v21, 0x3e9e377a, v17
	v_fmac_f32_e32 v30, 0x3f737871, v17
	;; [unrolled: 1-line block ×4, first 2 shown]
	v_sub_f32_e32 v40, v26, v14
	v_add_f32_e32 v2, v36, v21
	v_add_f32_e32 v3, v31, v30
	;; [unrolled: 1-line block ×4, first 2 shown]
	ds_write2_b64 v255, v[2:3], v[16:17] offset0:18 offset1:27
	v_sub_f32_e32 v2, v54, v66
	v_sub_f32_e32 v3, v65, v67
	v_add_f32_e32 v16, v55, v18
	v_add_f32_e32 v17, v59, v19
	ds_write2_b64 v255, v[16:17], v[2:3] offset0:36 offset1:45
	v_sub_f32_e32 v2, v57, v52
	v_sub_f32_e32 v3, v63, v53
	;; [unrolled: 1-line block ×6, first 2 shown]
	ds_write2_b64 v255, v[2:3], v[16:17] offset0:54 offset1:63
	v_sub_f32_e32 v3, v5, v34
	v_sub_f32_e32 v2, v4, v33
	;; [unrolled: 1-line block ×5, first 2 shown]
	ds_write2_b64 v255, v[2:3], v[4:5] offset0:72 offset1:81
	v_sub_f32_e32 v2, v28, v27
	v_sub_f32_e32 v3, v11, v15
	v_add_f32_e32 v5, v26, v14
	v_add_f32_e32 v4, v24, v20
	;; [unrolled: 1-line block ×3, first 2 shown]
	v_sub_f32_e32 v2, v29, v26
	v_sub_f32_e32 v3, v10, v14
	v_fma_f32 v41, -0.5, v5, v1
	v_add_f32_e32 v4, v4, v12
	v_add_f32_e32 v17, v2, v3
	v_sub_f32_e32 v2, v25, v13
	v_sub_f32_e32 v3, v7, v9
	v_fmamk_f32 v43, v42, 0x3f737871, v41
	v_add_f32_e32 v4, v4, v8
	v_fmac_f32_e32 v41, 0xbf737871, v42
	v_add_f32_e32 v18, v2, v3
	v_sub_f32_e32 v2, v20, v12
	v_sub_f32_e32 v3, v6, v8
	v_fmac_f32_e32 v43, 0x3f167918, v44
	v_add_f32_e32 v47, v4, v6
	v_fmac_f32_e32 v41, 0xbf167918, v44
	v_add_f32_e32 v19, v2, v3
	v_add_f32_e32 v2, v13, v9
	v_fmac_f32_e32 v43, 0x3e9e377a, v17
	v_fmac_f32_e32 v41, 0x3e9e377a, v17
	v_fma_f32 v21, -0.5, v2, v23
	v_add_f32_e32 v2, v12, v8
	v_fmamk_f32 v3, v32, 0xbf737871, v21
	v_fma_f32 v22, -0.5, v2, v24
	v_fmac_f32_e32 v21, 0x3f737871, v32
	v_fmac_f32_e32 v3, 0xbf167918, v33
	v_fmamk_f32 v2, v30, 0x3f737871, v22
	v_fmac_f32_e32 v22, 0xbf737871, v30
	v_fmac_f32_e32 v21, 0x3f167918, v33
	;; [unrolled: 1-line block ×8, first 2 shown]
	v_mul_f32_e32 v34, 0xbf167918, v2
	v_mul_f32_e32 v35, 0x3f4f1bbd, v2
	v_add_f32_e32 v2, v0, v28
	v_fmac_f32_e32 v34, 0x3f4f1bbd, v3
	v_fmac_f32_e32 v35, 0x3f167918, v3
	v_add_f32_e32 v2, v2, v27
	v_add_f32_e32 v3, v23, v25
	;; [unrolled: 1-line block ×8, first 2 shown]
	v_fma_f32 v37, -0.5, v2, v0
	v_add_f32_e32 v2, v1, v29
	v_add_f32_e32 v46, v3, v7
	v_fmamk_f32 v39, v38, 0xbf737871, v37
	v_add_f32_e32 v2, v2, v26
	v_fmac_f32_e32 v37, 0x3f737871, v38
	v_fmac_f32_e32 v39, 0xbf167918, v40
	v_add_f32_e32 v2, v2, v14
	v_fmac_f32_e32 v37, 0x3f167918, v40
	v_fmac_f32_e32 v39, 0x3e9e377a, v16
	v_add_f32_e32 v45, v2, v10
	v_add_f32_e32 v2, v36, v46
	v_fmac_f32_e32 v37, 0x3e9e377a, v16
	v_add_f32_e32 v4, v39, v34
	v_add_f32_e32 v3, v45, v47
	ds_write2_b64 v102, v[2:3], v[4:5] offset1:9
	v_add_f32_e32 v4, v28, v11
	v_add_f32_e32 v5, v29, v10
	v_sub_f32_e32 v2, v27, v28
	v_sub_f32_e32 v3, v15, v11
	;; [unrolled: 1-line block ×3, first 2 shown]
	v_fma_f32 v0, -0.5, v4, v0
	v_fmac_f32_e32 v1, -0.5, v5
	v_add_f32_e32 v4, v25, v7
	v_add_f32_e32 v2, v2, v3
	v_sub_f32_e32 v3, v26, v29
	v_fmamk_f32 v11, v40, 0x3f737871, v0
	v_fmac_f32_e32 v0, 0xbf737871, v40
	v_sub_f32_e32 v5, v9, v7
	v_fmamk_f32 v7, v44, 0xbf737871, v1
	v_fmac_f32_e32 v1, 0x3f737871, v44
	v_fmac_f32_e32 v11, 0xbf167918, v38
	;; [unrolled: 1-line block ×3, first 2 shown]
	v_fmac_f32_e32 v23, -0.5, v4
	v_fmac_f32_e32 v7, 0x3f167918, v42
	v_fmac_f32_e32 v1, 0xbf167918, v42
	;; [unrolled: 1-line block ×4, first 2 shown]
	v_add_f32_e32 v2, v3, v10
	v_sub_f32_e32 v3, v13, v25
	v_sub_f32_e32 v4, v8, v6
	v_mul_f32_e32 v13, 0xbf4f1bbd, v22
	v_fmac_f32_e32 v7, 0x3e9e377a, v2
	v_fmac_f32_e32 v1, 0x3e9e377a, v2
	v_add_f32_e32 v2, v3, v5
	v_add_f32_e32 v3, v20, v6
	v_fmamk_f32 v5, v33, 0x3f737871, v23
	v_fmac_f32_e32 v23, 0xbf737871, v33
	v_fmac_f32_e32 v13, 0x3f167918, v21
	v_fmac_f32_e32 v24, -0.5, v3
	v_sub_f32_e32 v3, v12, v20
	v_fmac_f32_e32 v5, 0xbf167918, v32
	v_fmac_f32_e32 v23, 0x3f167918, v32
	v_mul_f32_e32 v12, 0xbf167918, v22
	v_fmac_f32_e32 v5, 0x3e9e377a, v2
	v_fmac_f32_e32 v23, 0x3e9e377a, v2
	v_add_f32_e32 v2, v3, v4
	v_fmamk_f32 v3, v31, 0xbf737871, v24
	v_fmac_f32_e32 v24, 0x3f737871, v31
	v_fmac_f32_e32 v12, 0xbf4f1bbd, v21
	;; [unrolled: 1-line block ×6, first 2 shown]
	v_mul_f32_e32 v6, 0xbf737871, v3
	v_mul_f32_e32 v8, 0x3e9e377a, v3
	;; [unrolled: 1-line block ×4, first 2 shown]
	v_fmac_f32_e32 v6, 0x3e9e377a, v5
	v_fmac_f32_e32 v8, 0x3f737871, v5
	;; [unrolled: 1-line block ×4, first 2 shown]
	v_add_f32_e32 v2, v11, v6
	v_add_f32_e32 v3, v7, v8
	;; [unrolled: 1-line block ×4, first 2 shown]
	v_sub_f32_e32 v1, v1, v10
	v_sub_f32_e32 v0, v0, v9
	ds_write2_b64 v102, v[2:3], v[4:5] offset0:18 offset1:27
	v_sub_f32_e32 v2, v36, v46
	v_sub_f32_e32 v3, v45, v47
	v_add_f32_e32 v4, v37, v12
	v_add_f32_e32 v5, v41, v13
	ds_write2_b64 v102, v[4:5], v[2:3] offset0:36 offset1:45
	v_sub_f32_e32 v2, v39, v34
	v_sub_f32_e32 v3, v43, v35
	;; [unrolled: 1-line block ×4, first 2 shown]
	ds_write2_b64 v102, v[2:3], v[4:5] offset0:54 offset1:63
	v_sub_f32_e32 v2, v37, v12
	v_sub_f32_e32 v3, v41, v13
	ds_write2_b64 v102, v[0:1], v[2:3] offset0:72 offset1:81
	s_waitcnt lgkmcnt(0)
	s_barrier
	buffer_gl0_inv
	ds_read2_b64 v[0:3], v170 offset0:120 offset1:228
	s_clause 0x1
	buffer_load_dword v4, off, s[20:23], 0 offset:508
	buffer_load_dword v5, off, s[20:23], 0 offset:512
	s_waitcnt vmcnt(0) lgkmcnt(0)
	v_mul_f32_e32 v38, v5, v1
	v_fmac_f32_e32 v38, v4, v0
	v_mul_f32_e32 v0, v5, v0
	v_fma_f32 v40, v4, v1, -v0
	s_clause 0x1
	buffer_load_dword v4, off, s[20:23], 0 offset:484
	buffer_load_dword v5, off, s[20:23], 0 offset:488
	s_waitcnt vmcnt(0)
	v_mul_f32_e32 v24, v5, v3
	v_mul_f32_e32 v0, v5, v2
	v_fmac_f32_e32 v24, v4, v2
	v_fma_f32 v20, v4, v3, -v0
	ds_read2_b64 v[0:3], v81 offset0:80 offset1:188
	s_clause 0x1
	buffer_load_dword v4, off, s[20:23], 0 offset:516
	buffer_load_dword v5, off, s[20:23], 0 offset:520
	s_waitcnt lgkmcnt(0)
	v_mul_f32_e32 v8, v230, v3
	v_fmac_f32_e32 v8, v229, v2
	s_waitcnt vmcnt(0)
	v_mul_f32_e32 v16, v5, v1
	v_fmac_f32_e32 v16, v4, v0
	v_mul_f32_e32 v0, v5, v0
	v_fma_f32 v17, v4, v1, -v0
	v_mul_f32_e32 v0, v230, v2
	v_fma_f32 v9, v229, v3, -v0
	ds_read2_b64 v[0:3], v206 offset0:32 offset1:140
	s_clause 0x1
	buffer_load_dword v4, off, s[20:23], 0 offset:500
	buffer_load_dword v5, off, s[20:23], 0 offset:504
	s_waitcnt lgkmcnt(0)
	v_mul_f32_e32 v10, v163, v1
	v_fmac_f32_e32 v10, v162, v0
	v_mul_f32_e32 v0, v163, v0
	v_fma_f32 v11, v162, v1, -v0
	s_waitcnt vmcnt(0)
	v_mul_f32_e32 v32, v5, v3
	v_fmac_f32_e32 v32, v4, v2
	v_mul_f32_e32 v2, v5, v2
	v_fma_f32 v43, v4, v3, -v2
	ds_read2_b64 v[0:3], v82 offset0:24 offset1:132
	ds_read2_b64 v[4:7], v125 offset1:108
	s_waitcnt lgkmcnt(1)
	v_mul_f32_e32 v12, v161, v3
	v_mul_f32_e32 v22, v157, v1
	v_fmac_f32_e32 v12, v160, v2
	v_mul_f32_e32 v2, v161, v2
	v_fmac_f32_e32 v22, v156, v0
	v_mul_f32_e32 v0, v157, v0
	v_fma_f32 v13, v160, v3, -v2
	v_fma_f32 v23, v156, v1, -v0
	ds_read2_b64 v[0:3], v80 offset0:72 offset1:180
	s_waitcnt lgkmcnt(0)
	v_mul_f32_e32 v25, v159, v3
	v_mul_f32_e32 v31, v135, v1
	v_fmac_f32_e32 v25, v158, v2
	v_mul_f32_e32 v2, v159, v2
	v_fmac_f32_e32 v31, v134, v0
	v_mul_f32_e32 v0, v135, v0
	v_fma_f32 v26, v158, v3, -v2
	v_fma_f32 v33, v134, v1, -v0
	ds_read2_b64 v[0:3], v171 offset0:64 offset1:172
	;; [unrolled: 10-line block ×4, first 2 shown]
	s_waitcnt lgkmcnt(0)
	v_mul_f32_e32 v46, v242, v3
	v_mul_f32_e32 v18, v155, v1
	v_fmac_f32_e32 v46, v241, v2
	v_mul_f32_e32 v2, v242, v2
	v_fmac_f32_e32 v18, v154, v0
	v_mul_f32_e32 v0, v155, v0
	v_add_f32_e32 v60, v46, v32
	v_fma_f32 v51, v241, v3, -v2
	v_sub_f32_e32 v61, v46, v32
	v_fma_f32 v19, v154, v1, -v0
	ds_read2_b64 v[0:3], v83 offset0:96 offset1:204
	s_waitcnt lgkmcnt(0)
	v_mul_f32_e32 v14, v153, v3
	v_mul_f32_e32 v27, v129, v1
	v_fmac_f32_e32 v14, v152, v2
	v_mul_f32_e32 v2, v153, v2
	v_fmac_f32_e32 v27, v128, v0
	v_mul_f32_e32 v0, v129, v0
	v_fma_f32 v15, v152, v3, -v2
	v_fma_f32 v28, v128, v1, -v0
	ds_read2_b64 v[0:3], v124 offset0:16 offset1:124
	s_waitcnt lgkmcnt(0)
	v_mul_f32_e32 v29, v131, v3
	v_mul_f32_e32 v37, v115, v1
	v_fmac_f32_e32 v29, v130, v2
	v_mul_f32_e32 v2, v131, v2
	v_fmac_f32_e32 v37, v114, v0
	v_mul_f32_e32 v0, v115, v0
	v_fma_f32 v30, v130, v3, -v2
	;; [unrolled: 10-line block ×4, first 2 shown]
	v_fma_f32 v55, v251, v1, -v0
	ds_read2_b64 v[0:3], v103 offset0:48 offset1:156
	v_sub_f32_e32 v59, v55, v45
	s_waitcnt lgkmcnt(0)
	v_mul_f32_e32 v56, v250, v3
	v_fmac_f32_e32 v56, v249, v2
	v_mul_f32_e32 v2, v250, v2
	v_fma_f32 v57, v249, v3, -v2
	v_add_f32_e32 v2, v5, v55
	v_add_f32_e32 v3, v4, v54
	;; [unrolled: 1-line block ×6, first 2 shown]
	v_sub_f32_e32 v54, v54, v44
	v_add_f32_e32 v44, v51, v43
	v_fma_f32 v65, -0.5, v2, v5
	v_add_f32_e32 v45, v57, v51
	v_fma_f32 v64, -0.5, v3, v4
	ds_read2_b64 v[2:5], v204 offset0:88 offset1:196
	s_waitcnt lgkmcnt(0)
	s_barrier
	buffer_gl0_inv
	buffer_load_dword v68, off, s[20:23], 0 offset:480 ; 4-byte Folded Reload
	v_fmamk_f32 v67, v54, 0x3f5db3d7, v65
	v_fmac_f32_e32 v65, 0xbf5db3d7, v54
	buffer_load_dword v54, off, s[20:23], 0 offset:472 ; 4-byte Folded Reload
	v_fmac_f32_e32 v57, -0.5, v44
	v_add_f32_e32 v44, v56, v46
	v_fmac_f32_e32 v56, -0.5, v60
	v_sub_f32_e32 v51, v51, v43
	v_add_f32_e32 v60, v45, v43
	v_fmamk_f32 v43, v61, 0x3f5db3d7, v57
	v_add_f32_e32 v32, v44, v32
	v_fmamk_f32 v66, v59, 0xbf5db3d7, v64
	v_fmac_f32_e32 v57, 0xbf5db3d7, v61
	v_add_f32_e32 v44, v58, v60
	v_mul_f32_e32 v62, 0xbf5db3d7, v43
	v_mul_f32_e32 v63, 0.5, v43
	v_fmamk_f32 v43, v51, 0xbf5db3d7, v56
	v_fmac_f32_e32 v56, 0x3f5db3d7, v51
	v_mul_f32_e32 v51, -0.5, v57
	v_fmac_f32_e32 v64, 0x3f5db3d7, v59
	v_fmac_f32_e32 v62, 0.5, v43
	v_fmac_f32_e32 v63, 0x3f5db3d7, v43
	v_add_f32_e32 v43, v55, v32
	v_fmac_f32_e32 v51, 0x3f5db3d7, v56
	v_add_f32_e32 v45, v66, v62
	v_add_f32_e32 v46, v67, v63
	s_waitcnt vmcnt(1)
	ds_write2_b64 v68, v[43:44], v[45:46] offset1:90
	v_sub_f32_e32 v43, v55, v32
	v_mul_f32_e32 v32, 0xbf5db3d7, v57
	v_sub_f32_e32 v44, v58, v60
	v_add_f32_e32 v46, v65, v51
	v_fmac_f32_e32 v32, -0.5, v56
	buffer_load_dword v56, off, s[20:23], 0 offset:436 ; 4-byte Folded Reload
	v_add_f32_e32 v45, v64, v32
	s_waitcnt vmcnt(1)
	ds_write2_b64 v54, v[45:46], v[43:44] offset0:52 offset1:142
	v_sub_f32_e32 v45, v64, v32
	buffer_load_dword v32, off, s[20:23], 0 offset:476 ; 4-byte Folded Reload
	v_sub_f32_e32 v43, v66, v62
	v_sub_f32_e32 v44, v67, v63
	;; [unrolled: 1-line block ×4, first 2 shown]
	s_waitcnt vmcnt(0)
	ds_write2_b64 v32, v[43:44], v[45:46] offset0:104 offset1:194
	v_add_f32_e32 v32, v53, v50
	v_add_f32_e32 v43, v7, v53
	;; [unrolled: 1-line block ×5, first 2 shown]
	v_fmac_f32_e32 v7, -0.5, v32
	v_add_f32_e32 v32, v47, v38
	v_sub_f32_e32 v47, v47, v38
	v_add_f32_e32 v38, v44, v38
	v_fmamk_f32 v55, v51, 0x3f5db3d7, v7
	v_fmac_f32_e32 v41, -0.5, v32
	v_add_f32_e32 v32, v48, v40
	v_sub_f32_e32 v48, v48, v40
	v_add_f32_e32 v40, v45, v40
	v_fmac_f32_e32 v7, 0xbf5db3d7, v51
	v_fmac_f32_e32 v42, -0.5, v32
	v_add_f32_e32 v32, v6, v52
	v_fma_f32 v6, -0.5, v46, v6
	v_add_f32_e32 v32, v32, v49
	v_sub_f32_e32 v49, v53, v50
	v_add_f32_e32 v50, v43, v50
	v_fmamk_f32 v43, v47, 0x3f5db3d7, v42
	v_fmac_f32_e32 v42, 0xbf5db3d7, v47
	v_fmamk_f32 v54, v49, 0xbf5db3d7, v6
	v_add_f32_e32 v44, v50, v40
	v_mul_f32_e32 v52, 0xbf5db3d7, v43
	v_mul_f32_e32 v53, 0.5, v43
	v_fmamk_f32 v43, v48, 0xbf5db3d7, v41
	v_fmac_f32_e32 v41, 0x3f5db3d7, v48
	v_fmac_f32_e32 v6, 0x3f5db3d7, v49
	v_fmac_f32_e32 v52, 0.5, v43
	v_fmac_f32_e32 v53, 0x3f5db3d7, v43
	v_add_f32_e32 v43, v32, v38
	v_add_f32_e32 v45, v54, v52
	;; [unrolled: 1-line block ×3, first 2 shown]
	ds_write2_b64 v56, v[43:44], v[45:46] offset1:90
	v_sub_f32_e32 v43, v32, v38
	v_mul_f32_e32 v32, -0.5, v42
	v_mul_f32_e32 v38, 0xbf5db3d7, v42
	buffer_load_dword v42, off, s[20:23], 0 offset:396 ; 4-byte Folded Reload
	v_sub_f32_e32 v44, v50, v40
	v_fmac_f32_e32 v32, 0x3f5db3d7, v41
	v_fmac_f32_e32 v38, -0.5, v41
	v_add_f32_e32 v41, v7, v32
	v_sub_f32_e32 v7, v7, v32
	buffer_load_dword v32, off, s[20:23], 0 offset:400 ; 4-byte Folded Reload
	v_add_f32_e32 v40, v6, v38
	v_sub_f32_e32 v6, v6, v38
	v_add_f32_e32 v38, v39, v33
	v_fma_f32 v38, -0.5, v38, v3
	s_waitcnt vmcnt(1)
	ds_write2_b64 v42, v[40:41], v[43:44] offset0:52 offset1:142
	v_sub_f32_e32 v40, v54, v52
	v_sub_f32_e32 v41, v55, v53
	buffer_load_dword v44, off, s[20:23], 0 offset:440 ; 4-byte Folded Reload
	s_waitcnt vmcnt(1)
	ds_write2_b64 v32, v[40:41], v[6:7] offset0:104 offset1:194
	v_add_f32_e32 v6, v21, v20
	v_add_f32_e32 v7, v36, v21
	;; [unrolled: 1-line block ×3, first 2 shown]
	v_fmac_f32_e32 v36, -0.5, v6
	v_add_f32_e32 v6, v35, v34
	v_fma_f32 v40, -0.5, v40, v2
	v_add_f32_e32 v32, v6, v24
	v_add_f32_e32 v6, v34, v24
	v_sub_f32_e32 v24, v34, v24
	v_add_f32_e32 v34, v3, v39
	v_fmac_f32_e32 v35, -0.5, v6
	v_fmamk_f32 v6, v24, 0x3f5db3d7, v36
	v_add_f32_e32 v34, v34, v33
	v_sub_f32_e32 v33, v39, v33
	v_add_f32_e32 v39, v2, v37
	v_fmac_f32_e32 v36, 0xbf5db3d7, v24
	v_mul_f32_e32 v41, 0.5, v6
	v_fmamk_f32 v42, v33, 0xbf5db3d7, v40
	v_add_f32_e32 v39, v39, v31
	v_sub_f32_e32 v31, v37, v31
	v_add_f32_e32 v37, v7, v20
	v_sub_f32_e32 v20, v21, v20
	v_mul_f32_e32 v21, 0xbf5db3d7, v6
	v_mul_f32_e32 v24, -0.5, v36
	v_fmamk_f32 v43, v31, 0x3f5db3d7, v38
	v_fmac_f32_e32 v38, 0xbf5db3d7, v31
	buffer_load_dword v31, off, s[20:23], 0 offset:404 ; 4-byte Folded Reload
	v_fmamk_f32 v6, v20, 0xbf5db3d7, v35
	v_fmac_f32_e32 v35, 0x3f5db3d7, v20
	v_mul_f32_e32 v20, 0xbf5db3d7, v36
	v_add_f32_e32 v2, v39, v32
	v_add_f32_e32 v3, v34, v37
	v_fmac_f32_e32 v21, 0.5, v6
	v_fmac_f32_e32 v41, 0x3f5db3d7, v6
	v_fmac_f32_e32 v40, 0x3f5db3d7, v33
	v_fmac_f32_e32 v20, -0.5, v35
	v_fmac_f32_e32 v24, 0x3f5db3d7, v35
	v_add_f32_e32 v6, v42, v21
	v_add_f32_e32 v7, v43, v41
	s_waitcnt vmcnt(1)
	ds_write2_b64 v44, v[2:3], v[6:7] offset1:90
	v_sub_f32_e32 v2, v39, v32
	v_sub_f32_e32 v3, v34, v37
	v_add_f32_e32 v6, v40, v20
	v_add_f32_e32 v7, v38, v24
	buffer_load_dword v32, off, s[20:23], 0 offset:444 ; 4-byte Folded Reload
	s_waitcnt vmcnt(1)
	ds_write2_b64 v31, v[6:7], v[2:3] offset0:52 offset1:142
	v_sub_f32_e32 v6, v40, v20
	buffer_load_dword v20, off, s[20:23], 0 offset:408 ; 4-byte Folded Reload
	v_sub_f32_e32 v2, v42, v21
	v_sub_f32_e32 v3, v43, v41
	;; [unrolled: 1-line block ×3, first 2 shown]
	v_add_f32_e32 v21, v29, v25
	s_waitcnt vmcnt(0)
	ds_write2_b64 v20, v[2:3], v[6:7] offset0:104 offset1:194
	v_add_f32_e32 v2, v30, v26
	v_add_f32_e32 v3, v5, v30
	v_sub_f32_e32 v20, v29, v25
	v_add_f32_e32 v6, v27, v22
	v_add_f32_e32 v7, v28, v23
	v_fmac_f32_e32 v5, -0.5, v2
	v_add_f32_e32 v2, v22, v16
	v_sub_f32_e32 v22, v22, v16
	v_add_f32_e32 v16, v6, v16
	v_fmamk_f32 v31, v20, 0x3f5db3d7, v5
	v_fmac_f32_e32 v5, 0xbf5db3d7, v20
	buffer_load_dword v20, off, s[20:23], 0 offset:412 ; 4-byte Folded Reload
	v_fmac_f32_e32 v27, -0.5, v2
	v_add_f32_e32 v2, v23, v17
	v_sub_f32_e32 v23, v23, v17
	v_add_f32_e32 v17, v7, v17
	v_fmac_f32_e32 v28, -0.5, v2
	v_add_f32_e32 v2, v4, v29
	v_fma_f32 v4, -0.5, v21, v4
	v_add_f32_e32 v24, v2, v25
	v_fmamk_f32 v2, v22, 0x3f5db3d7, v28
	v_sub_f32_e32 v25, v30, v26
	v_add_f32_e32 v26, v3, v26
	v_fmac_f32_e32 v28, 0xbf5db3d7, v22
	v_mul_f32_e32 v29, 0xbf5db3d7, v2
	v_mul_f32_e32 v30, 0.5, v2
	v_fmamk_f32 v2, v23, 0xbf5db3d7, v27
	v_fmamk_f32 v21, v25, 0xbf5db3d7, v4
	v_add_f32_e32 v3, v26, v17
	v_fmac_f32_e32 v27, 0x3f5db3d7, v23
	v_fmac_f32_e32 v4, 0x3f5db3d7, v25
	v_fmac_f32_e32 v29, 0.5, v2
	v_fmac_f32_e32 v30, 0x3f5db3d7, v2
	v_add_f32_e32 v2, v24, v16
	v_add_f32_e32 v6, v21, v29
	;; [unrolled: 1-line block ×3, first 2 shown]
	ds_write2_b64 v32, v[2:3], v[6:7] offset1:90
	v_sub_f32_e32 v2, v24, v16
	v_sub_f32_e32 v3, v26, v17
	v_mul_f32_e32 v16, -0.5, v28
	v_mul_f32_e32 v17, 0xbf5db3d7, v28
	v_fmac_f32_e32 v16, 0x3f5db3d7, v27
	v_fmac_f32_e32 v17, -0.5, v27
	v_add_f32_e32 v7, v5, v16
	v_add_f32_e32 v6, v4, v17
	s_waitcnt vmcnt(0)
	ds_write2_b64 v20, v[6:7], v[2:3] offset0:52 offset1:142
	s_clause 0x1
	buffer_load_dword v6, off, s[20:23], 0 offset:416
	buffer_load_dword v20, off, s[20:23], 0 offset:448
	v_sub_f32_e32 v3, v5, v16
	v_sub_f32_e32 v2, v4, v17
	;; [unrolled: 1-line block ×4, first 2 shown]
	v_add_f32_e32 v7, v18, v10
	v_sub_f32_e32 v16, v19, v11
	s_waitcnt vmcnt(1)
	ds_write2_b64 v6, v[4:5], v[2:3] offset0:104 offset1:194
	v_add_f32_e32 v2, v19, v11
	v_add_f32_e32 v3, v1, v19
	;; [unrolled: 1-line block ×4, first 2 shown]
	v_sub_f32_e32 v6, v18, v10
	v_fmac_f32_e32 v1, -0.5, v2
	v_add_f32_e32 v2, v12, v8
	v_sub_f32_e32 v12, v12, v8
	v_add_f32_e32 v11, v3, v11
	v_add_f32_e32 v8, v4, v8
	v_fmamk_f32 v19, v6, 0x3f5db3d7, v1
	v_fmac_f32_e32 v14, -0.5, v2
	v_add_f32_e32 v2, v13, v9
	v_sub_f32_e32 v13, v13, v9
	v_add_f32_e32 v9, v5, v9
	v_fmac_f32_e32 v1, 0xbf5db3d7, v6
	v_fmac_f32_e32 v15, -0.5, v2
	v_add_f32_e32 v2, v0, v18
	v_fma_f32 v0, -0.5, v7, v0
	v_add_f32_e32 v3, v11, v9
	v_add_f32_e32 v10, v2, v10
	v_fmamk_f32 v2, v12, 0x3f5db3d7, v15
	v_fmamk_f32 v7, v16, 0xbf5db3d7, v0
	v_fmac_f32_e32 v15, 0xbf5db3d7, v12
	v_fmac_f32_e32 v0, 0x3f5db3d7, v16
	v_mul_f32_e32 v17, 0xbf5db3d7, v2
	v_mul_f32_e32 v18, 0.5, v2
	v_fmamk_f32 v2, v13, 0xbf5db3d7, v14
	v_fmac_f32_e32 v14, 0x3f5db3d7, v13
	v_mul_f32_e32 v6, -0.5, v15
	v_fmac_f32_e32 v17, 0.5, v2
	v_fmac_f32_e32 v18, 0x3f5db3d7, v2
	v_add_f32_e32 v2, v10, v8
	v_fmac_f32_e32 v6, 0x3f5db3d7, v14
	v_add_f32_e32 v4, v7, v17
	v_add_f32_e32 v5, v19, v18
	s_waitcnt vmcnt(0)
	ds_write2_b64 v20, v[2:3], v[4:5] offset1:90
	v_sub_f32_e32 v3, v11, v9
	buffer_load_dword v9, off, s[20:23], 0 offset:420 ; 4-byte Folded Reload
	v_sub_f32_e32 v2, v10, v8
	v_mul_f32_e32 v8, 0xbf5db3d7, v15
	v_add_f32_e32 v5, v1, v6
	v_sub_f32_e32 v1, v1, v6
	v_fmac_f32_e32 v8, -0.5, v14
	v_add_f32_e32 v4, v0, v8
	v_sub_f32_e32 v0, v0, v8
	s_waitcnt vmcnt(0)
	ds_write2_b64 v9, v[4:5], v[2:3] offset0:52 offset1:142
	buffer_load_dword v4, off, s[20:23], 0 offset:424 ; 4-byte Folded Reload
	v_sub_f32_e32 v2, v7, v17
	v_sub_f32_e32 v3, v19, v18
	s_waitcnt vmcnt(0)
	ds_write2_b64 v4, v[2:3], v[0:1] offset0:104 offset1:194
	s_waitcnt lgkmcnt(0)
	s_barrier
	buffer_gl0_inv
	ds_read2_b64 v[0:3], v170 offset0:120 offset1:228
	s_clause 0x1
	buffer_load_dword v4, off, s[20:23], 0 offset:524
	buffer_load_dword v5, off, s[20:23], 0 offset:528
	s_waitcnt lgkmcnt(0)
	v_mul_f32_e32 v18, v254, v3
	v_fmac_f32_e32 v18, v253, v2
	s_waitcnt vmcnt(0)
	v_mul_f32_e32 v23, v5, v1
	v_fmac_f32_e32 v23, v4, v0
	v_mul_f32_e32 v0, v5, v0
	v_fma_f32 v24, v4, v1, -v0
	v_mul_f32_e32 v0, v254, v2
	v_fma_f32 v19, v253, v3, -v0
	ds_read2_b64 v[0:3], v81 offset0:80 offset1:188
	s_clause 0x1
	buffer_load_dword v4, off, s[20:23], 0 offset:532
	buffer_load_dword v5, off, s[20:23], 0 offset:536
	s_waitcnt lgkmcnt(0)
	v_mul_f32_e32 v6, v240, v3
	v_fmac_f32_e32 v6, v239, v2
	s_waitcnt vmcnt(0)
	v_mul_f32_e32 v15, v5, v1
	v_fmac_f32_e32 v15, v4, v0
	v_mul_f32_e32 v0, v5, v0
	v_fma_f32 v17, v4, v1, -v0
	v_mul_f32_e32 v0, v240, v2
	v_fma_f32 v8, v239, v3, -v0
	ds_read2_b64 v[0:3], v206 offset0:32 offset1:140
	s_clause 0x1
	buffer_load_dword v4, off, s[20:23], 0 offset:492
	buffer_load_dword v5, off, s[20:23], 0 offset:496
	s_waitcnt lgkmcnt(0)
	v_mul_f32_e32 v7, v167, v1
	v_fmac_f32_e32 v7, v166, v0
	v_mul_f32_e32 v0, v167, v0
	v_fma_f32 v9, v166, v1, -v0
	s_waitcnt vmcnt(0)
	v_mul_f32_e32 v32, v5, v3
	v_fmac_f32_e32 v32, v4, v2
	v_mul_f32_e32 v2, v5, v2
	v_fma_f32 v46, v4, v3, -v2
	ds_read2_b64 v[0:3], v82 offset0:24 offset1:132
	s_waitcnt lgkmcnt(0)
	v_mul_f32_e32 v12, v165, v3
	v_mul_f32_e32 v22, v141, v1
	v_fmac_f32_e32 v12, v164, v2
	v_mul_f32_e32 v2, v165, v2
	v_fmac_f32_e32 v22, v140, v0
	v_mul_f32_e32 v0, v141, v0
	v_fma_f32 v10, v164, v3, -v2
	v_fma_f32 v20, v140, v1, -v0
	ds_read2_b64 v[0:3], v80 offset0:72 offset1:180
	s_waitcnt lgkmcnt(0)
	v_mul_f32_e32 v25, v143, v3
	v_mul_f32_e32 v31, v147, v1
	v_fmac_f32_e32 v25, v142, v2
	v_mul_f32_e32 v2, v143, v2
	v_fmac_f32_e32 v31, v146, v0
	v_mul_f32_e32 v0, v147, v0
	v_fma_f32 v26, v142, v3, -v2
	;; [unrolled: 10-line block ×9, first 2 shown]
	v_fma_f32 v56, v247, v1, -v0
	ds_read2_b64 v[0:3], v103 offset0:48 offset1:156
	s_waitcnt lgkmcnt(0)
	v_mul_f32_e32 v57, v246, v3
	v_fmac_f32_e32 v57, v245, v2
	v_mul_f32_e32 v2, v246, v2
	v_fma_f32 v59, v245, v3, -v2
	ds_read2_b64 v[2:5], v125 offset1:108
	s_waitcnt lgkmcnt(0)
	v_add_f32_e32 v50, v2, v55
	v_add_f32_e32 v52, v50, v47
	;; [unrolled: 1-line block ×9, first 2 shown]
	v_sub_f32_e32 v52, v52, v60
	v_add_f32_e32 v60, v56, v48
	v_sub_f32_e32 v48, v56, v48
	v_add_f32_e32 v56, v54, v46
	;; [unrolled: 2-line block ×3, first 2 shown]
	v_fma_f32 v60, -0.5, v60, v3
	v_sub_f32_e32 v53, v53, v61
	v_fmac_f32_e32 v59, -0.5, v56
	v_add_f32_e32 v56, v49, v32
	v_sub_f32_e32 v32, v49, v32
	v_add_f32_e32 v49, v55, v47
	v_sub_f32_e32 v47, v55, v47
	v_fmac_f32_e32 v57, -0.5, v56
	v_fmamk_f32 v54, v32, 0x3f5db3d7, v59
	v_fma_f32 v49, -0.5, v49, v2
	v_fmac_f32_e32 v59, 0xbf5db3d7, v32
	v_fmamk_f32 v61, v47, 0x3f5db3d7, v60
	v_fmac_f32_e32 v60, 0xbf5db3d7, v47
	v_mul_f32_e32 v55, 0xbf5db3d7, v54
	v_mul_f32_e32 v56, 0.5, v54
	v_fmamk_f32 v54, v46, 0xbf5db3d7, v57
	v_fmac_f32_e32 v57, 0x3f5db3d7, v46
	v_mul_f32_e32 v32, 0xbf5db3d7, v59
	v_fmac_f32_e32 v55, 0.5, v54
	v_fmac_f32_e32 v56, 0x3f5db3d7, v54
	v_fmamk_f32 v54, v48, 0xbf5db3d7, v49
	v_fmac_f32_e32 v49, 0x3f5db3d7, v48
	v_mul_f32_e32 v48, -0.5, v59
	v_fmac_f32_e32 v32, -0.5, v57
	v_add_f32_e32 v3, v61, v56
	v_add_f32_e32 v2, v54, v55
	v_sub_f32_e32 v54, v54, v55
	v_fmac_f32_e32 v48, 0x3f5db3d7, v57
	v_add_f32_e32 v46, v49, v32
	v_sub_f32_e32 v55, v61, v56
	v_sub_f32_e32 v56, v49, v32
	v_add_f32_e32 v47, v60, v48
	ds_write_b64 v125, v[2:3] offset:4320
	ds_write_b64 v125, v[46:47] offset:8640
	v_add_f32_e32 v2, v4, v45
	v_sub_f32_e32 v57, v60, v48
	ds_read2_b64 v[46:49], v204 offset0:88 offset1:196
	ds_write_b64 v125, v[52:53] offset:12960
	ds_write_b64 v125, v[54:55] offset:17280
	;; [unrolled: 1-line block ×3, first 2 shown]
	v_add_f32_e32 v32, v2, v41
	v_add_f32_e32 v2, v5, v58
	v_sub_f32_e32 v55, v37, v31
	v_add_f32_e32 v52, v2, v42
	v_add_f32_e32 v2, v43, v40
	v_add_f32_e32 v53, v2, v23
	v_add_f32_e32 v2, v44, v39
	v_add_f32_e32 v54, v2, v24
	v_add_f32_e32 v2, v32, v53
	v_add_f32_e32 v3, v52, v54
	ds_write2_b64 v125, v[50:51], v[2:3] offset1:108
	v_add_f32_e32 v2, v58, v42
	v_add_f32_e32 v3, v45, v41
	v_sub_f32_e32 v42, v58, v42
	v_sub_f32_e32 v41, v45, v41
	;; [unrolled: 1-line block ×3, first 2 shown]
	v_fmac_f32_e32 v5, -0.5, v2
	v_add_f32_e32 v2, v39, v24
	v_sub_f32_e32 v39, v39, v24
	v_fma_f32 v4, -0.5, v3, v4
	v_fmamk_f32 v50, v41, 0x3f5db3d7, v5
	v_fmac_f32_e32 v44, -0.5, v2
	v_add_f32_e32 v2, v40, v23
	v_sub_f32_e32 v40, v40, v23
	v_fmamk_f32 v45, v42, 0xbf5db3d7, v4
	v_fmac_f32_e32 v4, 0x3f5db3d7, v42
	v_fmac_f32_e32 v5, 0xbf5db3d7, v41
	v_fmac_f32_e32 v43, -0.5, v2
	v_fmamk_f32 v2, v40, 0x3f5db3d7, v44
	v_fmac_f32_e32 v44, 0xbf5db3d7, v40
	v_mul_f32_e32 v23, 0xbf5db3d7, v2
	v_mul_f32_e32 v24, 0.5, v2
	v_fmamk_f32 v2, v39, 0xbf5db3d7, v43
	v_fmac_f32_e32 v43, 0x3f5db3d7, v39
	v_mul_f32_e32 v41, 0xbf5db3d7, v44
	v_mul_f32_e32 v42, -0.5, v44
	v_fmac_f32_e32 v23, 0.5, v2
	v_fmac_f32_e32 v24, 0x3f5db3d7, v2
	v_fmac_f32_e32 v41, -0.5, v43
	v_fmac_f32_e32 v42, 0x3f5db3d7, v43
	v_add_f32_e32 v2, v45, v23
	v_add_f32_e32 v3, v50, v24
	;; [unrolled: 1-line block ×4, first 2 shown]
	v_sub_f32_e32 v23, v45, v23
	v_sub_f32_e32 v24, v50, v24
	ds_write_b64 v125, v[39:40] offset:9504
	ds_write_b64 v125, v[23:24] offset:18144
	v_add_f32_e32 v23, v36, v19
	v_add_f32_e32 v39, v35, v36
	;; [unrolled: 1-line block ×3, first 2 shown]
	v_sub_f32_e32 v36, v36, v19
	v_fmac_f32_e32 v35, -0.5, v23
	v_add_f32_e32 v23, v34, v18
	v_sub_f32_e32 v34, v34, v18
	v_fmac_f32_e32 v33, -0.5, v23
	v_fmamk_f32 v23, v34, 0x3f5db3d7, v35
	v_fmac_f32_e32 v35, 0xbf5db3d7, v34
	v_mul_f32_e32 v43, 0xbf5db3d7, v23
	v_mul_f32_e32 v44, 0.5, v23
	v_fmamk_f32 v23, v36, 0xbf5db3d7, v33
	v_fmac_f32_e32 v33, 0x3f5db3d7, v36
	v_mul_f32_e32 v34, -0.5, v35
	v_fmac_f32_e32 v43, 0.5, v23
	v_fmac_f32_e32 v44, 0x3f5db3d7, v23
	v_add_f32_e32 v23, v37, v31
	v_fmac_f32_e32 v34, 0x3f5db3d7, v33
	s_waitcnt lgkmcnt(6)
	v_fma_f32 v45, -0.5, v23, v46
	v_add_f32_e32 v23, v38, v21
	v_fmamk_f32 v56, v51, 0xbf5db3d7, v45
	v_fma_f32 v50, -0.5, v23, v47
	v_fmac_f32_e32 v45, 0x3f5db3d7, v51
	v_add_f32_e32 v23, v56, v43
	v_fmamk_f32 v57, v55, 0x3f5db3d7, v50
	v_fmac_f32_e32 v50, 0xbf5db3d7, v55
	v_add_f32_e32 v24, v57, v44
	ds_write2_b64 v205, v[2:3], v[23:24] offset0:136 offset1:244
	v_add_f32_e32 v23, v46, v37
	v_add_f32_e32 v24, v47, v38
	v_sub_f32_e32 v2, v32, v53
	v_sub_f32_e32 v3, v52, v54
	v_mul_f32_e32 v32, 0xbf5db3d7, v35
	v_add_f32_e32 v23, v23, v31
	v_add_f32_e32 v21, v24, v21
	v_add_f32_e32 v24, v40, v18
	v_add_f32_e32 v31, v39, v19
	v_fmac_f32_e32 v32, -0.5, v33
	v_add_f32_e32 v33, v48, v29
	v_add_f32_e32 v35, v49, v30
	v_sub_f32_e32 v18, v23, v24
	v_sub_f32_e32 v19, v21, v31
	ds_write2_b64 v171, v[2:3], v[18:19] offset0:64 offset1:172
	v_add_f32_e32 v19, v21, v31
	v_add_f32_e32 v21, v30, v26
	;; [unrolled: 1-line block ×6, first 2 shown]
	v_sub_f32_e32 v24, v30, v26
	v_fmac_f32_e32 v49, -0.5, v21
	v_add_f32_e32 v21, v29, v25
	v_add_f32_e32 v26, v20, v17
	v_sub_f32_e32 v25, v29, v25
	v_add_f32_e32 v29, v28, v20
	v_add_f32_e32 v30, v23, v15
	v_fma_f32 v35, -0.5, v21, v48
	v_fmac_f32_e32 v28, -0.5, v26
	v_add_f32_e32 v21, v22, v15
	v_sub_f32_e32 v15, v22, v15
	v_add_f32_e32 v29, v29, v17
	v_fmamk_f32 v36, v24, 0xbf5db3d7, v35
	v_fmac_f32_e32 v35, 0x3f5db3d7, v24
	v_fmac_f32_e32 v27, -0.5, v21
	v_sub_f32_e32 v17, v20, v17
	v_fmamk_f32 v24, v15, 0x3f5db3d7, v28
	v_fmac_f32_e32 v28, 0xbf5db3d7, v15
	v_sub_f32_e32 v3, v5, v42
	v_sub_f32_e32 v2, v4, v41
	v_fmamk_f32 v37, v17, 0xbf5db3d7, v27
	v_fmac_f32_e32 v27, 0x3f5db3d7, v17
	v_mul_f32_e32 v17, 0xbf5db3d7, v28
	v_mul_f32_e32 v38, -0.5, v28
	v_sub_f32_e32 v4, v45, v32
	v_sub_f32_e32 v5, v50, v34
	v_add_f32_e32 v22, v45, v32
	v_add_f32_e32 v23, v50, v34
	v_mul_f32_e32 v32, 0xbf5db3d7, v24
	v_mul_f32_e32 v34, 0.5, v24
	v_fmamk_f32 v15, v25, 0x3f5db3d7, v49
	v_fmac_f32_e32 v49, 0xbf5db3d7, v25
	v_fmac_f32_e32 v17, -0.5, v27
	v_fmac_f32_e32 v38, 0x3f5db3d7, v27
	v_fmac_f32_e32 v32, 0.5, v37
	v_fmac_f32_e32 v34, 0x3f5db3d7, v37
	v_add_f32_e32 v20, v31, v30
	v_add_f32_e32 v21, v33, v29
	;; [unrolled: 1-line block ×4, first 2 shown]
	v_sub_f32_e32 v26, v31, v30
	v_sub_f32_e32 v27, v33, v29
	;; [unrolled: 1-line block ×6, first 2 shown]
	ds_write2_b64 v170, v[2:3], v[4:5] offset0:120 offset1:228
	ds_write2_b64 v204, v[18:19], v[20:21] offset0:88 offset1:196
	;; [unrolled: 1-line block ×3, first 2 shown]
	ds_write_b64 v125, v[26:27] offset:15552
	ds_write2_b64 v80, v[28:29], v[30:31] offset0:72 offset1:180
	v_add_f32_e32 v4, v0, v14
	v_add_f32_e32 v5, v1, v16
	;; [unrolled: 1-line block ×4, first 2 shown]
	v_sub_f32_e32 v3, v49, v38
	v_add_f32_e32 v20, v4, v7
	v_add_f32_e32 v21, v5, v9
	;; [unrolled: 1-line block ×4, first 2 shown]
	v_sub_f32_e32 v2, v35, v17
	v_add_f32_e32 v23, v10, v8
	v_add_f32_e32 v5, v15, v34
	;; [unrolled: 1-line block ×5, first 2 shown]
	v_fmac_f32_e32 v13, -0.5, v23
	v_sub_f32_e32 v6, v12, v6
	ds_write_b64 v125, v[2:3] offset:24192
	ds_write_b64 v125, v[17:18] offset:3456
	v_add_f32_e32 v2, v16, v9
	v_fmac_f32_e32 v11, -0.5, v15
	v_sub_f32_e32 v8, v10, v8
	v_fmamk_f32 v3, v6, 0x3f5db3d7, v13
	v_fmac_f32_e32 v13, 0xbf5db3d7, v6
	v_fmac_f32_e32 v1, -0.5, v2
	v_add_f32_e32 v2, v14, v7
	v_sub_f32_e32 v9, v16, v9
	v_mul_f32_e32 v10, 0xbf5db3d7, v3
	v_fmamk_f32 v12, v8, 0xbf5db3d7, v11
	v_mul_f32_e32 v15, 0.5, v3
	v_sub_f32_e32 v3, v14, v7
	v_fma_f32 v0, -0.5, v2, v0
	v_fmac_f32_e32 v11, 0x3f5db3d7, v8
	v_mul_f32_e32 v6, -0.5, v13
	v_mul_f32_e32 v13, 0xbf5db3d7, v13
	v_fmac_f32_e32 v10, 0.5, v12
	v_fmac_f32_e32 v15, 0x3f5db3d7, v12
	v_fmamk_f32 v12, v9, 0xbf5db3d7, v0
	v_fmamk_f32 v14, v3, 0x3f5db3d7, v1
	v_fmac_f32_e32 v1, 0xbf5db3d7, v3
	v_fmac_f32_e32 v6, 0x3f5db3d7, v11
	;; [unrolled: 1-line block ×3, first 2 shown]
	v_fmac_f32_e32 v13, -0.5, v11
	v_add_f32_e32 v4, v36, v32
	v_add_f32_e32 v2, v12, v10
	;; [unrolled: 1-line block ×4, first 2 shown]
	v_sub_f32_e32 v1, v1, v6
	v_add_f32_e32 v6, v0, v13
	v_sub_f32_e32 v8, v20, v22
	v_sub_f32_e32 v9, v21, v19
	;; [unrolled: 1-line block ×5, first 2 shown]
	ds_write2_b64 v83, v[4:5], v[2:3] offset0:96 offset1:204
	ds_write_b64 v125, v[6:7] offset:12096
	ds_write_b64 v125, v[8:9] offset:16416
	;; [unrolled: 1-line block ×4, first 2 shown]
	s_waitcnt lgkmcnt(0)
	s_barrier
	buffer_gl0_inv
	ds_read2_b64 v[0:3], v125 offset1:108
	ds_read2_b64 v[4:7], v127 offset0:56 offset1:164
	s_clause 0x1
	buffer_load_dword v15, off, s[20:23], 0 offset:240
	buffer_load_dword v16, off, s[20:23], 0 offset:244
	ds_read2_b64 v[8:11], v126 offset0:112 offset1:220
	s_clause 0x1
	buffer_load_dword v13, off, s[20:23], 0 offset:232
	buffer_load_dword v14, off, s[20:23], 0 offset:236
	s_waitcnt vmcnt(2) lgkmcnt(2)
	v_mul_f32_e32 v20, v16, v1
	v_mul_f32_e32 v12, v16, v0
	s_waitcnt vmcnt(0)
	v_mul_f32_e32 v24, v14, v3
	v_mov_b32_e32 v26, v14
	v_mov_b32_e32 v25, v13
	v_fmac_f32_e32 v20, v15, v0
	v_fma_f32 v21, v15, v1, -v12
	v_fmac_f32_e32 v24, v13, v2
	ds_read2_b64 v[12:15], v204 offset0:88 offset1:196
	s_clause 0x1
	buffer_load_dword v16, off, s[20:23], 0 offset:216
	buffer_load_dword v17, off, s[20:23], 0 offset:220
	v_mul_f32_e32 v0, v26, v2
	v_fma_f32 v25, v25, v3, -v0
	s_waitcnt vmcnt(0) lgkmcnt(2)
	v_mul_f32_e32 v22, v17, v5
	v_mul_f32_e32 v1, v17, v4
	v_mov_b32_e32 v23, v16
	s_clause 0x1
	buffer_load_dword v16, off, s[20:23], 0 offset:224
	buffer_load_dword v17, off, s[20:23], 0 offset:228
	v_fmac_f32_e32 v22, v23, v4
	v_fma_f32 v23, v23, v5, -v1
	s_waitcnt vmcnt(0)
	v_mul_f32_e32 v27, v17, v7
	v_mul_f32_e32 v2, v17, v6
	v_mov_b32_e32 v26, v16
	ds_read2_b64 v[16:19], v124 offset0:16 offset1:124
	s_clause 0x1
	buffer_load_dword v0, off, s[20:23], 0 offset:176
	buffer_load_dword v1, off, s[20:23], 0 offset:180
	v_fmac_f32_e32 v27, v26, v6
	v_fma_f32 v28, v26, v7, -v2
	s_waitcnt vmcnt(0) lgkmcnt(2)
	v_mul_f32_e32 v26, v1, v9
	v_mul_f32_e32 v4, v1, v8
	v_mov_b32_e32 v6, v0
	s_clause 0x1
	buffer_load_dword v0, off, s[20:23], 0 offset:208
	buffer_load_dword v1, off, s[20:23], 0 offset:212
	v_fmac_f32_e32 v26, v6, v8
	v_fma_f32 v30, v6, v9, -v4
	s_waitcnt vmcnt(0)
	v_mul_f32_e32 v29, v1, v11
	v_mov_b32_e32 v32, v0
	v_mul_f32_e32 v5, v1, v10
	ds_read2_b64 v[0:3], v80 offset0:72 offset1:180
	s_clause 0x1
	buffer_load_dword v6, off, s[20:23], 0 offset:184
	buffer_load_dword v7, off, s[20:23], 0 offset:188
	v_fmac_f32_e32 v29, v32, v10
	s_clause 0x1
	buffer_load_dword v9, off, s[20:23], 0 offset:192
	buffer_load_dword v10, off, s[20:23], 0 offset:196
	v_fma_f32 v32, v32, v11, -v5
	s_waitcnt vmcnt(2) lgkmcnt(2)
	v_mul_f32_e32 v31, v7, v13
	v_mul_f32_e32 v4, v7, v12
	v_mov_b32_e32 v8, v6
	s_waitcnt vmcnt(0)
	v_mul_f32_e32 v5, v10, v14
	v_mul_f32_e32 v33, v10, v15
	v_fmac_f32_e32 v31, v6, v12
	s_clause 0x1
	buffer_load_dword v6, off, s[20:23], 0 offset:168
	buffer_load_dword v7, off, s[20:23], 0 offset:172
	v_fma_f32 v35, v8, v13, -v4
	v_fma_f32 v36, v9, v15, -v5
	s_clause 0x1
	buffer_load_dword v4, off, s[20:23], 0 offset:200
	buffer_load_dword v5, off, s[20:23], 0 offset:204
	v_fmac_f32_e32 v33, v9, v14
	v_cvt_f64_f32_e32 v[14:15], v22
	s_waitcnt vmcnt(2) lgkmcnt(1)
	v_mul_f32_e32 v34, v7, v17
	v_mul_f32_e32 v8, v7, v16
	v_mov_b32_e32 v10, v6
	s_waitcnt vmcnt(0)
	v_mul_f32_e32 v9, v5, v18
	v_mov_b32_e32 v12, v4
	v_fmac_f32_e32 v34, v6, v16
	v_mul_f32_e32 v37, v5, v19
	ds_read2_b64 v[4:7], v103 offset0:48 offset1:156
	v_fma_f32 v38, v10, v17, -v8
	s_clause 0x1
	buffer_load_dword v10, off, s[20:23], 0 offset:160
	buffer_load_dword v11, off, s[20:23], 0 offset:164
	v_fma_f32 v40, v12, v19, -v9
	s_clause 0x3
	buffer_load_dword v8, off, s[20:23], 0
	buffer_load_dword v9, off, s[20:23], 0 offset:4
	buffer_load_dword v44, off, s[20:23], 0 offset:152
	;; [unrolled: 1-line block ×3, first 2 shown]
	v_fmac_f32_e32 v37, v12, v18
	v_cvt_f64_f32_e32 v[12:13], v21
	v_cvt_f64_f32_e32 v[16:17], v23
	s_waitcnt vmcnt(4) lgkmcnt(1)
	v_mul_f32_e32 v39, v11, v1
	v_mul_f32_e32 v18, v11, v0
	s_waitcnt vmcnt(3)
	v_mov_b32_e32 v19, v8
	v_mov_b32_e32 v42, v10
	s_waitcnt vmcnt(0)
	v_mul_f32_e32 v41, v45, v3
	v_fmac_f32_e32 v39, v10, v0
	v_mul_f32_e32 v43, v45, v2
	v_mad_u64_u32 v[8:9], null, s2, v19, 0
	v_fma_f32 v42, v42, v1, -v18
	v_fmac_f32_e32 v41, v44, v2
	v_cvt_f64_f32_e32 v[10:11], v20
	v_mov_b32_e32 v48, v44
	v_cvt_f64_f32_e32 v[20:21], v30
	v_mov_b32_e32 v0, v9
	v_fma_f32 v30, v48, v3, -v43
	v_mad_u64_u32 v[0:1], null, s3, v19, v[0:1]
	s_clause 0x4
	buffer_load_dword v1, off, s[20:23], 0 offset:136
	buffer_load_dword v2, off, s[20:23], 0 offset:140
	;; [unrolled: 1-line block ×5, first 2 shown]
	v_cvt_f64_f32_e32 v[18:19], v26
	s_mov_b32 s2, 0x30abee4d
	s_mov_b32 s3, 0x3f343a27
	v_mov_b32_e32 v9, v0
	v_mul_f64 v[12:13], v[12:13], s[2:3]
	v_mul_f64 v[14:15], v[14:15], s[2:3]
	;; [unrolled: 1-line block ×3, first 2 shown]
	v_cvt_f64_f32_e32 v[25:26], v25
	v_mul_f64 v[10:11], v[10:11], s[2:3]
	s_waitcnt vmcnt(3) lgkmcnt(0)
	v_mul_f32_e32 v44, v2, v5
	v_mul_f32_e32 v45, v2, v4
	v_mov_b32_e32 v47, v1
	s_waitcnt vmcnt(2)
	v_mad_u64_u32 v[1:2], null, s0, v22, 0
	s_waitcnt vmcnt(0)
	v_mul_f32_e32 v46, v50, v7
	v_fmac_f32_e32 v44, v47, v4
	v_fma_f32 v43, v47, v5, -v45
	v_mov_b32_e32 v47, v49
	v_mov_b32_e32 v48, v50
	;; [unrolled: 1-line block ×3, first 2 shown]
	v_lshlrev_b64 v[3:4], 3, v[8:9]
	v_mul_f64 v[8:9], v[20:21], s[2:3]
	v_fmac_f32_e32 v46, v47, v6
	v_mul_f32_e32 v45, v48, v6
	v_mad_u64_u32 v[22:23], null, s1, v22, v[0:1]
	v_cvt_f64_f32_e32 v[23:24], v24
	v_mul_f64 v[5:6], v[18:19], s[2:3]
	v_mov_b32_e32 v48, v47
	v_add_co_u32 v47, vcc_lo, s4, v3
	v_cvt_f32_f64_e32 v3, v[12:13]
	v_mov_b32_e32 v2, v22
	v_cvt_f64_f32_e32 v[18:19], v28
	v_cvt_f64_f32_e32 v[20:21], v29
	v_add_co_ci_u32_e32 v4, vcc_lo, s5, v4, vcc_lo
	v_lshlrev_b64 v[0:1], 3, v[1:2]
	v_cvt_f32_f64_e32 v2, v[10:11]
	v_cvt_f32_f64_e32 v10, v[14:15]
	;; [unrolled: 1-line block ×3, first 2 shown]
	v_mul_f64 v[14:15], v[25:26], s[2:3]
	v_cvt_f64_f32_e32 v[16:17], v27
	v_add_co_u32 v0, vcc_lo, v47, v0
	s_mul_i32 s4, s1, 0x21c0
	s_mul_hi_u32 s5, s0, 0x21c0
	v_add_co_ci_u32_e32 v1, vcc_lo, v4, v1, vcc_lo
	v_mul_f64 v[12:13], v[23:24], s[2:3]
	v_cvt_f64_f32_e32 v[22:23], v32
	v_cvt_f32_f64_e32 v4, v[5:6]
	v_cvt_f32_f64_e32 v5, v[8:9]
	v_cvt_f64_f32_e32 v[8:9], v31
	v_cvt_f64_f32_e32 v[24:25], v35
	v_fma_f32 v35, v48, v7, -v45
	v_cvt_f64_f32_e32 v[6:7], v34
	v_cvt_f64_f32_e32 v[28:29], v38
	s_add_i32 s4, s5, s4
	s_mul_i32 s5, s0, 0x21c0
	s_mulk_i32 s1, 0xbfe0
	v_add_co_u32 v26, vcc_lo, v0, s5
	v_add_co_ci_u32_e32 v27, vcc_lo, s4, v1, vcc_lo
	global_store_dwordx2 v[0:1], v[2:3], off
	global_store_dwordx2 v[26:27], v[10:11], off
	v_cvt_f32_f64_e32 v1, v[14:15]
	v_mul_f64 v[2:3], v[16:17], s[2:3]
	v_mul_f64 v[10:11], v[18:19], s[2:3]
	v_cvt_f32_f64_e32 v0, v[12:13]
	v_mul_f64 v[12:13], v[20:21], s[2:3]
	v_mul_f64 v[14:15], v[22:23], s[2:3]
	v_add_co_u32 v16, vcc_lo, v26, s5
	v_add_co_ci_u32_e32 v17, vcc_lo, s4, v27, vcc_lo
	v_mul_f64 v[8:9], v[8:9], s[2:3]
	v_mul_f64 v[18:19], v[24:25], s[2:3]
	s_mulk_i32 s0, 0xbfe0
	global_store_dwordx2 v[16:17], v[4:5], off
	v_mul_f64 v[4:5], v[6:7], s[2:3]
	v_mul_f64 v[6:7], v[28:29], s[2:3]
	s_add_i32 s1, s6, s1
	v_add_co_u32 v16, vcc_lo, v16, s0
	v_add_co_ci_u32_e32 v17, vcc_lo, s1, v17, vcc_lo
	v_cvt_f64_f32_e32 v[22:23], v42
	v_cvt_f64_f32_e32 v[26:27], v44
	v_cvt_f32_f64_e32 v2, v[2:3]
	v_cvt_f32_f64_e32 v3, v[10:11]
	global_store_dwordx2 v[16:17], v[0:1], off
	v_cvt_f32_f64_e32 v10, v[12:13]
	v_cvt_f32_f64_e32 v11, v[14:15]
	v_add_co_u32 v0, vcc_lo, v16, s5
	v_add_co_ci_u32_e32 v1, vcc_lo, s4, v17, vcc_lo
	v_cvt_f32_f64_e32 v8, v[8:9]
	v_cvt_f32_f64_e32 v9, v[18:19]
	v_add_co_u32 v14, vcc_lo, v0, s5
	v_cvt_f32_f64_e32 v4, v[4:5]
	v_cvt_f32_f64_e32 v5, v[6:7]
	v_add_co_ci_u32_e32 v15, vcc_lo, s4, v1, vcc_lo
	v_cvt_f64_f32_e32 v[18:19], v40
	v_cvt_f64_f32_e32 v[6:7], v37
	;; [unrolled: 1-line block ×3, first 2 shown]
	v_mul_f64 v[22:23], v[22:23], s[2:3]
	v_cvt_f64_f32_e32 v[20:21], v39
	v_cvt_f64_f32_e32 v[16:17], v36
	global_store_dwordx2 v[0:1], v[2:3], off
	ds_read2_b64 v[0:3], v207 offset0:104 offset1:212
	v_cvt_f64_f32_e32 v[24:25], v41
	global_store_dwordx2 v[14:15], v[10:11], off
	v_add_co_u32 v14, vcc_lo, v14, s0
	v_add_co_ci_u32_e32 v15, vcc_lo, s1, v15, vcc_lo
	v_cvt_f64_f32_e32 v[10:11], v30
	v_add_co_u32 v30, vcc_lo, v14, s5
	v_add_co_ci_u32_e32 v31, vcc_lo, s4, v15, vcc_lo
	global_store_dwordx2 v[14:15], v[8:9], off
	v_cvt_f64_f32_e32 v[28:29], v43
	global_store_dwordx2 v[30:31], v[4:5], off
	s_clause 0x1
	buffer_load_dword v4, off, s[20:23], 0 offset:120
	buffer_load_dword v5, off, s[20:23], 0 offset:124
	v_mul_f64 v[14:15], v[18:19], s[2:3]
	v_cvt_f32_f64_e32 v19, v[22:23]
	v_mul_f64 v[22:23], v[26:27], s[2:3]
	v_add_co_u32 v26, vcc_lo, v30, s5
	v_mul_f64 v[8:9], v[6:7], s[2:3]
	v_add_co_ci_u32_e32 v27, vcc_lo, s4, v31, vcc_lo
	v_mul_f64 v[20:21], v[20:21], s[2:3]
	v_mul_f64 v[12:13], v[12:13], s[2:3]
	v_mul_f64 v[16:17], v[16:17], s[2:3]
	v_mul_f64 v[10:11], v[10:11], s[2:3]
	v_cvt_f32_f64_e32 v8, v[8:9]
	v_cvt_f32_f64_e32 v9, v[14:15]
	v_add_co_u32 v14, vcc_lo, v26, s0
	v_cvt_f32_f64_e32 v18, v[20:21]
	v_mul_f64 v[20:21], v[24:25], s[2:3]
	v_mul_f64 v[24:25], v[28:29], s[2:3]
	v_cvt_f32_f64_e32 v12, v[12:13]
	v_cvt_f32_f64_e32 v13, v[16:17]
	v_add_co_ci_u32_e32 v15, vcc_lo, s1, v27, vcc_lo
	v_cvt_f32_f64_e32 v20, v[20:21]
	v_cvt_f32_f64_e32 v21, v[10:11]
	;; [unrolled: 1-line block ×4, first 2 shown]
	v_add_co_u32 v22, vcc_lo, v14, s5
	v_add_co_ci_u32_e32 v23, vcc_lo, s4, v15, vcc_lo
	v_add_co_u32 v42, vcc_lo, v22, s5
	v_add_co_ci_u32_e32 v43, vcc_lo, s4, v23, vcc_lo
	s_waitcnt vmcnt(0) lgkmcnt(0)
	v_mul_f32_e32 v32, v5, v1
	v_mul_f32_e32 v33, v5, v0
	v_mov_b32_e32 v34, v4
	ds_read2_b64 v[4:7], v206 offset0:32 offset1:140
	s_clause 0x1
	buffer_load_dword v30, off, s[20:23], 0 offset:104
	buffer_load_dword v31, off, s[20:23], 0 offset:108
	v_fma_f32 v28, v34, v1, -v33
	v_fmac_f32_e32 v32, v34, v0
	v_cvt_f64_f32_e32 v[34:35], v35
	v_cvt_f64_f32_e32 v[16:17], v28
	;; [unrolled: 1-line block ×4, first 2 shown]
	v_add_co_u32 v46, vcc_lo, v42, s0
	v_add_co_ci_u32_e32 v47, vcc_lo, s1, v43, vcc_lo
	v_mul_f64 v[16:17], v[16:17], s[2:3]
	v_mul_f64 v[24:25], v[0:1], s[2:3]
	s_waitcnt vmcnt(0) lgkmcnt(0)
	v_mul_f32_e32 v28, v31, v5
	v_mul_f32_e32 v29, v31, v4
	v_fmac_f32_e32 v28, v30, v4
	v_fma_f32 v4, v30, v5, -v29
	s_clause 0x3
	buffer_load_dword v30, off, s[20:23], 0 offset:112
	buffer_load_dword v31, off, s[20:23], 0 offset:116
	;; [unrolled: 1-line block ×4, first 2 shown]
	s_waitcnt vmcnt(2)
	v_mul_f32_e32 v5, v31, v3
	v_mul_f32_e32 v29, v31, v2
	s_waitcnt vmcnt(0)
	v_mul_f32_e32 v0, v37, v7
	v_fmac_f32_e32 v5, v30, v2
	v_fma_f32 v1, v30, v3, -v29
	v_mul_f32_e32 v2, v37, v6
	v_mov_b32_e32 v3, v36
	v_cvt_f64_f32_e32 v[30:31], v4
	v_fmac_f32_e32 v0, v36, v6
	v_cvt_f64_f32_e32 v[36:37], v5
	v_cvt_f64_f32_e32 v[38:39], v1
	v_fma_f32 v4, v3, v7, -v2
	v_cvt_f64_f32_e32 v[28:29], v28
	v_cvt_f64_f32_e32 v[40:41], v0
	ds_read2_b64 v[0:3], v205 offset0:136 offset1:244
	v_cvt_f64_f32_e32 v[44:45], v4
	ds_read2_b64 v[4:7], v171 offset0:64 offset1:172
	global_store_dwordx2 v[26:27], v[18:19], off
	global_store_dwordx2 v[14:15], v[12:13], off
	;; [unrolled: 1-line block ×5, first 2 shown]
	s_clause 0x1
	buffer_load_dword v9, off, s[20:23], 0 offset:96
	buffer_load_dword v10, off, s[20:23], 0 offset:100
	v_mul_f64 v[18:19], v[32:33], s[2:3]
	v_mul_f64 v[20:21], v[34:35], s[2:3]
	s_clause 0x1
	buffer_load_dword v33, off, s[20:23], 0 offset:88
	buffer_load_dword v34, off, s[20:23], 0 offset:92
	v_cvt_f32_f64_e32 v13, v[16:17]
	v_cvt_f32_f64_e32 v12, v[24:25]
	v_mul_f64 v[16:17], v[30:31], s[2:3]
	v_mul_f64 v[22:23], v[36:37], s[2:3]
	;; [unrolled: 1-line block ×6, first 2 shown]
	v_cvt_f32_f64_e32 v18, v[18:19]
	v_cvt_f32_f64_e32 v19, v[20:21]
	;; [unrolled: 1-line block ×8, first 2 shown]
	s_waitcnt vmcnt(2) lgkmcnt(1)
	v_mul_f32_e32 v8, v10, v1
	s_waitcnt vmcnt(0) lgkmcnt(0)
	v_mul_f32_e32 v32, v34, v5
	v_fmac_f32_e32 v8, v9, v0
	v_mul_f32_e32 v0, v10, v0
	v_mov_b32_e32 v10, v9
	v_mul_f32_e32 v9, v34, v4
	v_fmac_f32_e32 v32, v33, v4
	v_cvt_f64_f32_e32 v[30:31], v8
	v_fma_f32 v8, v10, v1, -v0
	v_fma_f32 v34, v33, v5, -v9
	v_add_co_u32 v0, vcc_lo, v46, s5
	v_add_co_ci_u32_e32 v1, vcc_lo, s4, v47, vcc_lo
	v_cvt_f64_f32_e32 v[4:5], v8
	ds_read2_b64 v[8:11], v170 offset0:120 offset1:228
	s_clause 0x1
	buffer_load_dword v38, off, s[20:23], 0 offset:80
	buffer_load_dword v39, off, s[20:23], 0 offset:84
	v_cvt_f64_f32_e32 v[34:35], v34
	v_add_co_u32 v16, vcc_lo, v0, s5
	v_add_co_ci_u32_e32 v17, vcc_lo, s4, v1, vcc_lo
	v_cvt_f64_f32_e32 v[32:33], v32
	v_add_co_u32 v20, vcc_lo, v16, s0
	v_add_co_ci_u32_e32 v21, vcc_lo, s1, v17, vcc_lo
	v_mul_f64 v[26:27], v[30:31], s[2:3]
	v_mul_f64 v[4:5], v[4:5], s[2:3]
	;; [unrolled: 1-line block ×4, first 2 shown]
	s_waitcnt vmcnt(0) lgkmcnt(0)
	v_mul_f32_e32 v36, v39, v9
	v_mul_f32_e32 v37, v39, v8
	s_clause 0x1
	buffer_load_dword v39, off, s[20:23], 0 offset:72
	buffer_load_dword v40, off, s[20:23], 0 offset:76
	v_fmac_f32_e32 v36, v38, v8
	v_fma_f32 v34, v38, v9, -v37
	v_add_co_u32 v8, vcc_lo, v20, s5
	v_add_co_ci_u32_e32 v9, vcc_lo, s4, v21, vcc_lo
	v_cvt_f64_f32_e32 v[32:33], v36
	v_cvt_f64_f32_e32 v[34:35], v34
	s_waitcnt vmcnt(0)
	v_mul_f32_e32 v37, v40, v3
	v_mul_f32_e32 v38, v40, v2
	v_fmac_f32_e32 v37, v39, v2
	v_add_co_u32 v2, vcc_lo, v8, s5
	v_fma_f32 v38, v39, v3, -v38
	v_add_co_ci_u32_e32 v3, vcc_lo, s4, v9, vcc_lo
	global_store_dwordx2 v[0:1], v[12:13], off
	global_store_dwordx2 v[16:17], v[14:15], off
	global_store_dwordx2 v[20:21], v[18:19], off
	global_store_dwordx2 v[8:9], v[22:23], off
	global_store_dwordx2 v[2:3], v[24:25], off
	s_clause 0x1
	buffer_load_dword v0, off, s[20:23], 0 offset:64
	buffer_load_dword v1, off, s[20:23], 0 offset:68
	v_cvt_f32_f64_e32 v9, v[4:5]
	v_cvt_f32_f64_e32 v4, v[28:29]
	;; [unrolled: 1-line block ×4, first 2 shown]
	v_add_co_u32 v12, vcc_lo, v2, s0
	v_add_co_ci_u32_e32 v13, vcc_lo, s1, v3, vcc_lo
	v_mul_f64 v[14:15], v[32:33], s[2:3]
	v_add_co_u32 v18, vcc_lo, v12, s5
	v_add_co_ci_u32_e32 v19, vcc_lo, s4, v13, vcc_lo
	v_cvt_f64_f32_e32 v[36:37], v37
	v_cvt_f64_f32_e32 v[38:39], v38
	v_mul_f64 v[16:17], v[34:35], s[2:3]
	v_cvt_f32_f64_e32 v14, v[14:15]
	v_mul_f64 v[20:21], v[36:37], s[2:3]
	v_mul_f64 v[22:23], v[38:39], s[2:3]
	v_cvt_f32_f64_e32 v15, v[16:17]
	v_add_co_u32 v16, vcc_lo, v18, s5
	v_add_co_ci_u32_e32 v17, vcc_lo, s4, v19, vcc_lo
	s_waitcnt vmcnt(0)
	v_mul_f32_e32 v24, v1, v7
	v_mov_b32_e32 v28, v0
	v_fmac_f32_e32 v24, v0, v6
	v_mul_f32_e32 v6, v1, v6
	s_clause 0x1
	buffer_load_dword v0, off, s[20:23], 0 offset:56
	buffer_load_dword v1, off, s[20:23], 0 offset:60
	v_cvt_f64_f32_e32 v[24:25], v24
	v_fma_f32 v6, v28, v7, -v6
	s_waitcnt vmcnt(0)
	v_mul_f32_e32 v27, v1, v10
	v_mov_b32_e32 v29, v0
	v_mul_f32_e32 v26, v1, v11
	ds_read2_b64 v[0:3], v83 offset0:96 offset1:204
	global_store_dwordx2 v[12:13], v[8:9], off
	global_store_dwordx2 v[18:19], v[4:5], off
	v_cvt_f64_f32_e32 v[12:13], v6
	v_fma_f32 v7, v29, v11, -v27
	v_fmac_f32_e32 v26, v29, v10
	v_cvt_f32_f64_e32 v19, v[22:23]
	v_mul_f64 v[22:23], v[24:25], s[2:3]
	v_cvt_f32_f64_e32 v18, v[20:21]
	v_cvt_f64_f32_e32 v[28:29], v7
	ds_read2_b64 v[4:7], v82 offset0:24 offset1:132
	ds_read2_b64 v[8:11], v81 offset0:80 offset1:188
	s_clause 0x1
	buffer_load_dword v32, off, s[20:23], 0 offset:48
	buffer_load_dword v33, off, s[20:23], 0 offset:52
	v_cvt_f64_f32_e32 v[26:27], v26
	v_add_co_u32 v20, vcc_lo, v16, s0
	v_add_co_ci_u32_e32 v21, vcc_lo, s1, v17, vcc_lo
	v_mul_f64 v[24:25], v[28:29], s[2:3]
	s_waitcnt vmcnt(0) lgkmcnt(2)
	v_mul_f32_e32 v30, v33, v1
	v_mul_f32_e32 v31, v33, v0
	v_fmac_f32_e32 v30, v32, v0
	v_fma_f32 v31, v32, v1, -v31
	s_clause 0x3
	buffer_load_dword v32, off, s[20:23], 0 offset:40
	buffer_load_dword v33, off, s[20:23], 0 offset:44
	;; [unrolled: 1-line block ×4, first 2 shown]
	v_mul_f64 v[0:1], v[12:13], s[2:3]
	v_mul_f64 v[12:13], v[26:27], s[2:3]
	v_cvt_f64_f32_e32 v[26:27], v30
	v_cvt_f64_f32_e32 v[28:29], v31
	v_cvt_f32_f64_e32 v12, v[12:13]
	v_cvt_f32_f64_e32 v13, v[24:25]
	s_waitcnt vmcnt(2) lgkmcnt(1)
	v_mul_f32_e32 v30, v33, v5
	v_mul_f32_e32 v31, v33, v4
	v_mov_b32_e32 v35, v32
	s_waitcnt vmcnt(0) lgkmcnt(0)
	v_mul_f32_e32 v32, v37, v9
	v_mul_f32_e32 v33, v37, v8
	v_mov_b32_e32 v38, v36
	s_clause 0x1
	buffer_load_dword v36, off, s[20:23], 0 offset:24
	buffer_load_dword v37, off, s[20:23], 0 offset:28
	v_fmac_f32_e32 v30, v35, v4
	v_fma_f32 v31, v35, v5, -v31
	v_fmac_f32_e32 v32, v38, v8
	v_fma_f32 v33, v38, v9, -v33
	s_clause 0x3
	buffer_load_dword v38, off, s[20:23], 0 offset:16
	buffer_load_dword v39, off, s[20:23], 0 offset:20
	;; [unrolled: 1-line block ×4, first 2 shown]
	v_cvt_f64_f32_e32 v[4:5], v30
	v_cvt_f64_f32_e32 v[8:9], v31
	v_cvt_f64_f32_e32 v[30:31], v32
	v_cvt_f64_f32_e32 v[32:33], v33
	global_store_dwordx2 v[16:17], v[14:15], off
	global_store_dwordx2 v[20:21], v[18:19], off
	v_cvt_f32_f64_e32 v15, v[0:1]
	v_mul_f64 v[0:1], v[26:27], s[2:3]
	v_mul_f64 v[16:17], v[28:29], s[2:3]
	v_add_co_u32 v18, vcc_lo, v20, s5
	v_cvt_f32_f64_e32 v14, v[22:23]
	v_add_co_ci_u32_e32 v19, vcc_lo, s4, v21, vcc_lo
	v_mul_f64 v[4:5], v[4:5], s[2:3]
	v_mul_f64 v[8:9], v[8:9], s[2:3]
	;; [unrolled: 1-line block ×4, first 2 shown]
	v_add_co_u32 v30, vcc_lo, v18, s5
	v_add_co_ci_u32_e32 v31, vcc_lo, s4, v19, vcc_lo
	v_cvt_f32_f64_e32 v0, v[0:1]
	v_cvt_f32_f64_e32 v1, v[16:17]
	v_add_co_u32 v16, vcc_lo, v30, s0
	v_add_co_ci_u32_e32 v17, vcc_lo, s1, v31, vcc_lo
	global_store_dwordx2 v[18:19], v[14:15], off
	global_store_dwordx2 v[30:31], v[12:13], off
	v_cvt_f32_f64_e32 v4, v[4:5]
	v_cvt_f32_f64_e32 v5, v[8:9]
	v_add_co_u32 v8, vcc_lo, v16, s5
	v_add_co_ci_u32_e32 v9, vcc_lo, s4, v17, vcc_lo
	v_cvt_f32_f64_e32 v20, v[20:21]
	v_cvt_f32_f64_e32 v21, v[22:23]
	global_store_dwordx2 v[16:17], v[0:1], off
	s_waitcnt vmcnt(4)
	v_mul_f32_e32 v34, v37, v3
	v_mov_b32_e32 v40, v36
	v_fmac_f32_e32 v34, v36, v2
	v_mul_f32_e32 v2, v37, v2
	s_waitcnt vmcnt(2)
	v_mul_f32_e32 v36, v39, v7
	v_mul_f32_e32 v37, v39, v6
	v_mov_b32_e32 v41, v38
	s_waitcnt vmcnt(0)
	v_mul_f32_e32 v38, v43, v11
	v_mul_f32_e32 v39, v43, v10
	v_fma_f32 v2, v40, v3, -v2
	v_cvt_f64_f32_e32 v[34:35], v34
	v_fmac_f32_e32 v36, v41, v6
	v_fma_f32 v37, v41, v7, -v37
	v_fmac_f32_e32 v38, v42, v10
	v_fma_f32 v39, v42, v11, -v39
	v_cvt_f64_f32_e32 v[2:3], v2
	v_cvt_f64_f32_e32 v[6:7], v36
	;; [unrolled: 1-line block ×5, first 2 shown]
	v_mul_f64 v[24:25], v[34:35], s[2:3]
	v_mul_f64 v[2:3], v[2:3], s[2:3]
	;; [unrolled: 1-line block ×6, first 2 shown]
	v_cvt_f32_f64_e32 v22, v[24:25]
	v_cvt_f32_f64_e32 v23, v[2:3]
	;; [unrolled: 1-line block ×6, first 2 shown]
	v_add_co_u32 v10, vcc_lo, v8, s5
	v_add_co_ci_u32_e32 v11, vcc_lo, s4, v9, vcc_lo
	v_add_co_u32 v14, vcc_lo, v10, s0
	v_add_co_ci_u32_e32 v15, vcc_lo, s1, v11, vcc_lo
	;; [unrolled: 2-line block ×4, first 2 shown]
	global_store_dwordx2 v[8:9], v[4:5], off
	global_store_dwordx2 v[10:11], v[20:21], off
	;; [unrolled: 1-line block ×5, first 2 shown]
.LBB0_2:
	s_endpgm
	.section	.rodata,"a",@progbits
	.p2align	6, 0x0
	.amdhsa_kernel bluestein_single_fwd_len3240_dim1_sp_op_CI_CI
		.amdhsa_group_segment_fixed_size 25920
		.amdhsa_private_segment_fixed_size 576
		.amdhsa_kernarg_size 104
		.amdhsa_user_sgpr_count 6
		.amdhsa_user_sgpr_private_segment_buffer 1
		.amdhsa_user_sgpr_dispatch_ptr 0
		.amdhsa_user_sgpr_queue_ptr 0
		.amdhsa_user_sgpr_kernarg_segment_ptr 1
		.amdhsa_user_sgpr_dispatch_id 0
		.amdhsa_user_sgpr_flat_scratch_init 0
		.amdhsa_user_sgpr_private_segment_size 0
		.amdhsa_wavefront_size32 1
		.amdhsa_uses_dynamic_stack 0
		.amdhsa_system_sgpr_private_segment_wavefront_offset 1
		.amdhsa_system_sgpr_workgroup_id_x 1
		.amdhsa_system_sgpr_workgroup_id_y 0
		.amdhsa_system_sgpr_workgroup_id_z 0
		.amdhsa_system_sgpr_workgroup_info 0
		.amdhsa_system_vgpr_workitem_id 0
		.amdhsa_next_free_vgpr 256
		.amdhsa_next_free_sgpr 24
		.amdhsa_reserve_vcc 1
		.amdhsa_reserve_flat_scratch 0
		.amdhsa_float_round_mode_32 0
		.amdhsa_float_round_mode_16_64 0
		.amdhsa_float_denorm_mode_32 3
		.amdhsa_float_denorm_mode_16_64 3
		.amdhsa_dx10_clamp 1
		.amdhsa_ieee_mode 1
		.amdhsa_fp16_overflow 0
		.amdhsa_workgroup_processor_mode 1
		.amdhsa_memory_ordered 1
		.amdhsa_forward_progress 0
		.amdhsa_shared_vgpr_count 0
		.amdhsa_exception_fp_ieee_invalid_op 0
		.amdhsa_exception_fp_denorm_src 0
		.amdhsa_exception_fp_ieee_div_zero 0
		.amdhsa_exception_fp_ieee_overflow 0
		.amdhsa_exception_fp_ieee_underflow 0
		.amdhsa_exception_fp_ieee_inexact 0
		.amdhsa_exception_int_div_zero 0
	.end_amdhsa_kernel
	.text
.Lfunc_end0:
	.size	bluestein_single_fwd_len3240_dim1_sp_op_CI_CI, .Lfunc_end0-bluestein_single_fwd_len3240_dim1_sp_op_CI_CI
                                        ; -- End function
	.section	.AMDGPU.csdata,"",@progbits
; Kernel info:
; codeLenInByte = 32424
; NumSgprs: 26
; NumVgprs: 256
; ScratchSize: 576
; MemoryBound: 0
; FloatMode: 240
; IeeeMode: 1
; LDSByteSize: 25920 bytes/workgroup (compile time only)
; SGPRBlocks: 3
; VGPRBlocks: 31
; NumSGPRsForWavesPerEU: 26
; NumVGPRsForWavesPerEU: 256
; Occupancy: 4
; WaveLimiterHint : 1
; COMPUTE_PGM_RSRC2:SCRATCH_EN: 1
; COMPUTE_PGM_RSRC2:USER_SGPR: 6
; COMPUTE_PGM_RSRC2:TRAP_HANDLER: 0
; COMPUTE_PGM_RSRC2:TGID_X_EN: 1
; COMPUTE_PGM_RSRC2:TGID_Y_EN: 0
; COMPUTE_PGM_RSRC2:TGID_Z_EN: 0
; COMPUTE_PGM_RSRC2:TIDIG_COMP_CNT: 0
	.text
	.p2alignl 6, 3214868480
	.fill 48, 4, 3214868480
	.type	__hip_cuid_669c4b6bd4113d6e,@object ; @__hip_cuid_669c4b6bd4113d6e
	.section	.bss,"aw",@nobits
	.globl	__hip_cuid_669c4b6bd4113d6e
__hip_cuid_669c4b6bd4113d6e:
	.byte	0                               ; 0x0
	.size	__hip_cuid_669c4b6bd4113d6e, 1

	.ident	"AMD clang version 19.0.0git (https://github.com/RadeonOpenCompute/llvm-project roc-6.4.0 25133 c7fe45cf4b819c5991fe208aaa96edf142730f1d)"
	.section	".note.GNU-stack","",@progbits
	.addrsig
	.addrsig_sym __hip_cuid_669c4b6bd4113d6e
	.amdgpu_metadata
---
amdhsa.kernels:
  - .args:
      - .actual_access:  read_only
        .address_space:  global
        .offset:         0
        .size:           8
        .value_kind:     global_buffer
      - .actual_access:  read_only
        .address_space:  global
        .offset:         8
        .size:           8
        .value_kind:     global_buffer
      - .actual_access:  read_only
        .address_space:  global
        .offset:         16
        .size:           8
        .value_kind:     global_buffer
      - .actual_access:  read_only
        .address_space:  global
        .offset:         24
        .size:           8
        .value_kind:     global_buffer
      - .actual_access:  read_only
        .address_space:  global
        .offset:         32
        .size:           8
        .value_kind:     global_buffer
      - .offset:         40
        .size:           8
        .value_kind:     by_value
      - .address_space:  global
        .offset:         48
        .size:           8
        .value_kind:     global_buffer
      - .address_space:  global
        .offset:         56
        .size:           8
        .value_kind:     global_buffer
      - .address_space:  global
        .offset:         64
        .size:           8
        .value_kind:     global_buffer
      - .address_space:  global
        .offset:         72
        .size:           8
        .value_kind:     global_buffer
      - .offset:         80
        .size:           4
        .value_kind:     by_value
      - .address_space:  global
        .offset:         88
        .size:           8
        .value_kind:     global_buffer
      - .address_space:  global
        .offset:         96
        .size:           8
        .value_kind:     global_buffer
    .group_segment_fixed_size: 25920
    .kernarg_segment_align: 8
    .kernarg_segment_size: 104
    .language:       OpenCL C
    .language_version:
      - 2
      - 0
    .max_flat_workgroup_size: 108
    .name:           bluestein_single_fwd_len3240_dim1_sp_op_CI_CI
    .private_segment_fixed_size: 576
    .sgpr_count:     26
    .sgpr_spill_count: 0
    .symbol:         bluestein_single_fwd_len3240_dim1_sp_op_CI_CI.kd
    .uniform_work_group_size: 1
    .uses_dynamic_stack: false
    .vgpr_count:     256
    .vgpr_spill_count: 143
    .wavefront_size: 32
    .workgroup_processor_mode: 1
amdhsa.target:   amdgcn-amd-amdhsa--gfx1030
amdhsa.version:
  - 1
  - 2
...

	.end_amdgpu_metadata
